;; amdgpu-corpus repo=ROCm/aiter kind=harvested arch=n/a opt=n/a

/root/src/amdgpu-assembly/repos/ROCm__aiter/hsa/gfx950/fmoe/gelu/fmoe_bf16_pertokenFp8_g1u1_tkw1_gelu_1tg_32x64.co:	file format elf64-amdgpu

Disassembly of section .text:

0000000000002b00 <_ZN5aiter46fmoe_bf16_pertokenFp8_g1u1_tkw1_gelu_1tg_32x64E>:
	s_and_b32 s1, s1, 0xffff                                   // 000000002B00: 8601FF01 0000FFFF
	s_load_dwordx2 s[8:9], s[0:1], 0x0                         // 000000002B08: C0060200 00000000
	s_load_dwordx2 s[20:21], s[0:1], 0x10                      // 000000002B10: C0060500 00000010
	s_load_dwordx2 s[24:25], s[0:1], 0x20                      // 000000002B18: C0060600 00000020
	s_load_dwordx2 s[50:51], s[0:1], 0x30                      // 000000002B20: C0060C80 00000030
	s_load_dwordx2 s[12:13], s[0:1], 0x40                      // 000000002B28: C0060300 00000040
	s_load_dwordx2 s[28:29], s[0:1], 0x50                      // 000000002B30: C0060700 00000050
	s_load_dwordx2 s[32:33], s[0:1], 0x60                      // 000000002B38: C0060800 00000060
	s_load_dwordx2 s[16:17], s[0:1], 0x70                      // 000000002B40: C0060400 00000070
	s_load_dwordx2 s[36:37], s[0:1], 0x80                      // 000000002B48: C0060900 00000080
	s_load_dwordx2 s[44:45], s[0:1], 0x90                      // 000000002B50: C0060B00 00000090
	s_load_dwordx2 s[40:41], s[0:1], 0xa0                      // 000000002B58: C0060A00 000000A0
	s_load_dwordx2 s[46:47], s[0:1], 0xb0                      // 000000002B60: C0060B80 000000B0
	s_load_dword s64, s[0:1], 0xc0                             // 000000002B68: C0021000 000000C0
	s_load_dword s65, s[0:1], 0xd0                             // 000000002B70: C0021040 000000D0
	s_load_dword s66, s[0:1], 0xe0                             // 000000002B78: C0021080 000000E0
	s_load_dword s67, s[0:1], 0xf0                             // 000000002B80: C00210C0 000000F0
	s_load_dword s68, s[0:1], 0x100                            // 000000002B88: C0021100 00000100
	s_load_dword s69, s[0:1], 0x110                            // 000000002B90: C0021140 00000110
	s_load_dword s70, s[0:1], 0x120                            // 000000002B98: C0021180 00000120
	s_load_dword s71, s[0:1], 0x130                            // 000000002BA0: C00211C0 00000130
	s_load_dword s72, s[0:1], 0x140                            // 000000002BA8: C0021200 00000140
	s_load_dword s73, s[0:1], 0x150                            // 000000002BB0: C0021240 00000150
	s_load_dword s74, s[0:1], 0x160                            // 000000002BB8: C0021280 00000160
	s_load_dword s75, s[0:1], 0x170                            // 000000002BC0: C00212C0 00000170
	s_load_dword s76, s[0:1], 0x180                            // 000000002BC8: C0021300 00000180
	v_lshrrev_b32_e32 v1, 10, v0                               // 000000002BD0: 2002008A
	v_lshrrev_b32_e32 v2, 10, v1                               // 000000002BD4: 2004028A
	v_and_b32_e32 v2, 0x3ff, v2                                // 000000002BD8: 260404FF 000003FF
	v_and_b32_e32 v1, 0x3ff, v1                                // 000000002BE0: 260202FF 000003FF
	v_and_b32_e32 v0, 0x3ff, v0                                // 000000002BE8: 260000FF 000003FF
	v_lshrrev_b32_e32 v3, 6, v0                                // 000000002BF0: 20060086
	v_and_b32_e32 v0, 63, v0                                   // 000000002BF4: 260000BF
	s_mov_b32 s2, s2                                           // 000000002BF8: BE820002
	s_mov_b32 s3, s3                                           // 000000002BFC: BE830003
	s_mov_b32 s4, s4                                           // 000000002C00: BE840004
	v_readfirstlane_b32 s7, v3                                 // 000000002C04: 7E0E0503
	s_waitcnt lgkmcnt(0)                                       // 000000002C08: BF8CC07F
	s_and_b32 s51, s51, 0xffff                                 // 000000002C0C: 8633FF33 0000FFFF
	s_load_dword s50, s[50:51], 0x0                            // 000000002C14: C0020C99 00000000
	s_and_b32 s45, s45, 0xffff                                 // 000000002C1C: 862DFF2D 0000FFFF
	s_and_b32 s47, s47, 0xffff                                 // 000000002C24: 862FFF2F 0000FFFF
	s_and_b32 s9, s9, 0xffff                                   // 000000002C2C: 8609FF09 0000FFFF
	s_mul_i32 s60, s66, s68                                    // 000000002C34: 923C4442
	s_mul_i32 s61, s66, 4                                      // 000000002C38: 923D8442
	s_mov_b32 s22, s60                                         // 000000002C3C: BE96003C
	s_mov_b32 s26, 0x80000000                                  // 000000002C40: BE9A00FF 80000000
	s_mov_b32 s14, 0x80000000                                  // 000000002C48: BE8E00FF 80000000
	s_mov_b32 s42, 0x80000000                                  // 000000002C50: BEAA00FF 80000000
	s_mov_b32 s30, s61                                         // 000000002C58: BE9E003D
	s_mov_b32 s34, 0x100                                       // 000000002C5C: BEA200FF 00000100
	s_mov_b32 s38, 0x100                                       // 000000002C64: BEA600FF 00000100
	s_mov_b32 s18, 0x80000000                                  // 000000002C6C: BE9200FF 80000000
	s_mov_b32 s23, 0x20000                                     // 000000002C74: BE9700FF 00020000
	s_mov_b32 s27, 0x20000                                     // 000000002C7C: BE9B00FF 00020000
	s_mov_b32 s15, 0x20000                                     // 000000002C84: BE8F00FF 00020000
	s_mov_b32 s43, 0x20000                                     // 000000002C8C: BEAB00FF 00020000
	s_mov_b32 s31, 0x20000                                     // 000000002C94: BE9F00FF 00020000
	s_mov_b32 s35, 0x20000                                     // 000000002C9C: BEA300FF 00020000
	s_mov_b32 s39, 0x20000                                     // 000000002CA4: BEA700FF 00020000
	s_mov_b32 s19, 0x20000                                     // 000000002CAC: BE9300FF 00020000
	s_and_b32 s21, s21, 0xffff                                 // 000000002CB4: 8615FF15 0000FFFF
	s_and_b32 s25, s25, 0xffff                                 // 000000002CBC: 8619FF19 0000FFFF
	s_and_b32 s13, s13, 0xffff                                 // 000000002CC4: 860DFF0D 0000FFFF
	s_and_b32 s41, s41, 0xffff                                 // 000000002CCC: 8629FF29 0000FFFF
	s_and_b32 s29, s29, 0xffff                                 // 000000002CD4: 861DFF1D 0000FFFF
	s_and_b32 s33, s33, 0xffff                                 // 000000002CDC: 8621FF21 0000FFFF
	s_and_b32 s37, s37, 0xffff                                 // 000000002CE4: 8625FF25 0000FFFF
	s_and_b32 s17, s17, 0xffff                                 // 000000002CEC: 8611FF11 0000FFFF
	s_or_b32 s21, s21, 0x40000                                 // 000000002CF4: 8715FF15 00040000
	s_or_b32 s25, s25, 0x40000                                 // 000000002CFC: 8719FF19 00040000
	s_or_b32 s13, s13, 0x40000                                 // 000000002D04: 870DFF0D 00040000
	s_or_b32 s41, s41, 0x40000                                 // 000000002D0C: 8729FF29 00040000
	s_or_b32 s29, s29, 0x40000                                 // 000000002D14: 871DFF1D 00040000
	s_or_b32 s33, s33, 0x40000                                 // 000000002D1C: 8721FF21 00040000
	s_or_b32 s37, s37, 0x40000                                 // 000000002D24: 8725FF25 00040000
	s_or_b32 s17, s17, 0x40000                                 // 000000002D2C: 8711FF11 00040000
	v_accvgpr_write_b32 a31, 0                                 // 000000002D34: D3D9401F 18000080
	v_mov_b32_e32 v199, 0                                      // 000000002D3C: 7F8E0280
	s_waitcnt lgkmcnt(0)                                       // 000000002D40: BF8CC07F
	s_mul_i32 s60, s3, 32                                      // 000000002D44: 923CA003
	s_cmp_lt_i32 s60, s50                                      // 000000002D48: BF04323C
	s_cbranch_scc0 label_0EF4                                  // 000000002D4C: BF840E60
	s_mov_b32 s80, 0                                           // 000000002D50: BED00080
	s_mov_b32 s81, s64                                         // 000000002D54: BED10040
	s_mul_i32 s60, s3, 4                                       // 000000002D58: 923C8403
	s_add_u32 s46, s60, s46                                    // 000000002D5C: 802E2E3C
	s_addc_u32 s47, 0, s47                                     // 000000002D60: 822F2F80
	s_load_dword s5, s[46:47], 0x0                             // 000000002D64: C0020157 00000000
	s_mul_i32 s60, s3, 32                                      // 000000002D6C: 923CA003
	s_mul_i32 s60, 4, s60                                      // 000000002D70: 923C3C84
	v_and_b32_e32 v42, 15, v0                                  // 000000002D74: 2654008F
	v_lshlrev_b32_e32 v42, 2, v42                              // 000000002D78: 24545482
	v_add_u32_e32 v42, s60, v42                                // 000000002D7C: 6854543C
	v_mov_b32_e32 v43, 0                                       // 000000002D80: 7E560280
	global_load_dword v6, v42, s[44:45]                        // 000000002D84: DC508000 062C002A
	v_add_u32_e32 v42, 64, v42                                 // 000000002D8C: 685454C0
	global_load_dword v7, v42, s[44:45]                        // 000000002D90: DC508000 072C002A
	s_mul_i32 s60, s3, 32                                      // 000000002D98: 923CA003
	s_add_u32 s60, s7, s60                                     // 000000002D9C: 803C3C07
	s_mul_i32 s60, 4, s60                                      // 000000002DA0: 923C3C84
	s_add_u32 s44, s60, s44                                    // 000000002DA4: 802C2C3C
	s_addc_u32 s45, 0, s45                                     // 000000002DA8: 822D2D80
	s_load_dword s82, s[44:45], 0x0                            // 000000002DAC: C0021496 00000000
	s_load_dword s83, s[44:45], 0x10                           // 000000002DB4: C00214D6 00000010
	s_load_dword s84, s[44:45], 0x20                           // 000000002DBC: C0021516 00000020
	s_load_dword s85, s[44:45], 0x30                           // 000000002DC4: C0021556 00000030
	s_load_dword s86, s[44:45], 0x40                           // 000000002DCC: C0021596 00000040
	s_load_dword s87, s[44:45], 0x50                           // 000000002DD4: C00215D6 00000050
	s_load_dword s88, s[44:45], 0x60                           // 000000002DDC: C0021616 00000060
	s_load_dword s89, s[44:45], 0x70                           // 000000002DE4: C0021656 00000070
	s_waitcnt lgkmcnt(0)                                       // 000000002DEC: BF8CC07F
	v_lshlrev_b32_e32 v42, 2, v0                               // 000000002DF0: 24540082
	s_and_b32 s82, s82, 0xffffff                               // 000000002DF4: 8652FF52 00FFFFFF
	s_mul_i32 s60, s82, s68                                    // 000000002DFC: 923C4452
	v_add_u32_e64 v24, v42, s60                                // 000000002E00: D1340018 0000792A
	s_and_b32 s83, s83, 0xffffff                               // 000000002E08: 8653FF53 00FFFFFF
	s_mul_i32 s60, s83, s68                                    // 000000002E10: 923C4453
	v_add_u32_e64 v25, v42, s60                                // 000000002E14: D1340019 0000792A
	s_and_b32 s84, s84, 0xffffff                               // 000000002E1C: 8654FF54 00FFFFFF
	s_mul_i32 s60, s84, s68                                    // 000000002E24: 923C4454
	v_add_u32_e64 v26, v42, s60                                // 000000002E28: D134001A 0000792A
	s_and_b32 s85, s85, 0xffffff                               // 000000002E30: 8655FF55 00FFFFFF
	s_mul_i32 s60, s85, s68                                    // 000000002E38: 923C4455
	v_add_u32_e64 v27, v42, s60                                // 000000002E3C: D134001B 0000792A
	s_and_b32 s86, s86, 0xffffff                               // 000000002E44: 8656FF56 00FFFFFF
	s_mul_i32 s60, s86, s68                                    // 000000002E4C: 923C4456
	v_add_u32_e64 v28, v42, s60                                // 000000002E50: D134001C 0000792A
	s_and_b32 s87, s87, 0xffffff                               // 000000002E58: 8657FF57 00FFFFFF
	s_mul_i32 s60, s87, s68                                    // 000000002E60: 923C4457
	v_add_u32_e64 v29, v42, s60                                // 000000002E64: D134001D 0000792A
	s_and_b32 s88, s88, 0xffffff                               // 000000002E6C: 8658FF58 00FFFFFF
	s_mul_i32 s60, s88, s68                                    // 000000002E74: 923C4458
	v_add_u32_e64 v30, v42, s60                                // 000000002E78: D134001E 0000792A
	s_and_b32 s89, s89, 0xffffff                               // 000000002E80: 8659FF59 00FFFFFF
	s_mul_i32 s60, s89, s68                                    // 000000002E88: 923C4459
	v_add_u32_e64 v31, v42, s60                                // 000000002E8C: D134001F 0000792A
	v_lshlrev_b32_e32 v42, 2, v0                               // 000000002E94: 24540082
	s_mul_i32 s60, s82, s71                                    // 000000002E98: 923C4752
	v_add_u32_e64 v80, v42, s60                                // 000000002E9C: D1340050 0000792A
	v_mov_b32_e32 v81, 0                                       // 000000002EA4: 7EA20280
	s_mul_i32 s60, s83, s71                                    // 000000002EA8: 923C4753
	v_add_u32_e64 v82, v42, s60                                // 000000002EAC: D1340052 0000792A
	v_mov_b32_e32 v83, 0                                       // 000000002EB4: 7EA60280
	s_mul_i32 s60, s84, s71                                    // 000000002EB8: 923C4754
	v_add_u32_e64 v84, v42, s60                                // 000000002EBC: D1340054 0000792A
	v_mov_b32_e32 v85, 0                                       // 000000002EC4: 7EAA0280
	s_mul_i32 s60, s85, s71                                    // 000000002EC8: 923C4755
	v_add_u32_e64 v86, v42, s60                                // 000000002ECC: D1340056 0000792A
	v_mov_b32_e32 v87, 0                                       // 000000002ED4: 7EAE0280
	s_mul_i32 s60, s86, s71                                    // 000000002ED8: 923C4756
	v_add_u32_e64 v88, v42, s60                                // 000000002EDC: D1340058 0000792A
	v_mov_b32_e32 v89, 0                                       // 000000002EE4: 7EB20280
	s_mul_i32 s60, s87, s71                                    // 000000002EE8: 923C4757
	v_add_u32_e64 v90, v42, s60                                // 000000002EEC: D134005A 0000792A
	v_mov_b32_e32 v91, 0                                       // 000000002EF4: 7EB60280
	s_mul_i32 s60, s88, s71                                    // 000000002EF8: 923C4758
	v_add_u32_e64 v92, v42, s60                                // 000000002EFC: D134005C 0000792A
	v_mov_b32_e32 v93, 0                                       // 000000002F04: 7EBA0280
	s_mul_i32 s60, s89, s71                                    // 000000002F08: 923C4759
	v_add_u32_e64 v94, v42, s60                                // 000000002F0C: D134005E 0000792A
	v_mov_b32_e32 v95, 0                                       // 000000002F14: 7EBE0280
	s_mul_i32 s60, s7, 0x820                                   // 000000002F18: 923CFF07 00000820
	s_add_u32 s50, 0, s60                                      // 000000002F20: 80323C80
	s_add_u32 s51, 0x2080, s50                                 // 000000002F24: 803332FF 00002080
	v_lshrrev_b32_e32 v42, 4, v0                               // 000000002F2C: 20540084
	v_lshlrev_b32_e32 v43, 2, v42                              // 000000002F30: 24565482
	v_and_b32_e32 v42, 15, v0                                  // 000000002F34: 2654008F
	v_lshrrev_b32_e32 v44, 2, v42                              // 000000002F38: 20585482
	v_lshlrev_b32_e32 v44, 6, v44                              // 000000002F3C: 24585886
	v_add_u32_e32 v43, v44, v43                                // 000000002F40: 6856572C
	v_and_b32_e32 v42, 3, v0                                   // 000000002F44: 26540083
	v_mul_i32_i24_e32 v44, 0x208, v42                          // 000000002F48: 0C5854FF 00000208
	v_add_u32_e32 v43, v44, v43                                // 000000002F50: 6856572C
	v_lshlrev_b32_e32 v2, 2, v43                               // 000000002F54: 24045682
	s_mul_i32 s60, s2, 64                                      // 000000002F58: 923CC002
	s_mul_i32 s60, s60, s69                                    // 000000002F5C: 923C453C
	s_mul_i32 s61, s5, s72                                     // 000000002F60: 923D4805
	s_add_u32 s60, s61, s60                                    // 000000002F64: 803C3C3D
	s_add_u32 s24, s60, s24                                    // 000000002F68: 8018183C
	s_addc_u32 s25, 0, s25                                     // 000000002F6C: 82191980
	s_mul_i32 s60, s7, 16                                      // 000000002F70: 923C9007
	s_mul_i32 s60, s60, s69                                    // 000000002F74: 923C453C
	v_lshlrev_b32_e32 v32, 4, v0                               // 000000002F78: 24400084
	v_add_u32_e32 v32, s60, v32                                // 000000002F7C: 6840403C
	s_mul_i32 s60, 64, s69                                     // 000000002F80: 923C45C0
	s_mov_b32 s92, s24                                         // 000000002F84: BEDC0018
	s_mov_b32 s93, s25                                         // 000000002F88: BEDD0019
	s_mov_b32 s94, s26                                         // 000000002F8C: BEDE001A
	s_mov_b32 s95, s27                                         // 000000002F90: BEDF001B
	s_mul_i32 s60, s69, s65                                    // 000000002F94: 923C4145
	s_add_u32 s92, s60, s92                                    // 000000002F98: 805C5C3C
	s_addc_u32 s93, 0, s93                                     // 000000002F9C: 825D5D80
	s_mul_i32 s60, s2, 0x400                                   // 000000002FA0: 923CFF02 00000400
	s_mul_i32 s61, s5, s73                                     // 000000002FA8: 923D4905
	s_add_u32 s60, s61, s60                                    // 000000002FAC: 803C3C3D
	s_add_u32 s12, s60, s12                                    // 000000002FB0: 800C0C3C
	s_addc_u32 s13, 0, s13                                     // 000000002FB4: 820D0D80
	s_mul_i32 s60, s7, 16                                      // 000000002FB8: 923C9007
	s_mul_i32 s60, s60, s70                                    // 000000002FBC: 923C463C
	v_lshlrev_b32_e32 v33, 4, v0                               // 000000002FC0: 24420084
	v_add_u32_e32 v33, s60, v33                                // 000000002FC4: 6842423C
	s_mul_i32 s60, 64, s70                                     // 000000002FC8: 923C46C0
	v_add_u32_e32 v34, s60, v33                                // 000000002FCC: 6844423C
	v_add_u32_e32 v35, s60, v34                                // 000000002FD0: 6846443C
	v_add_u32_e32 v36, s60, v35                                // 000000002FD4: 6848463C
	s_mul_i32 s60, s70, 0x100                                  // 000000002FD8: 923CFF46 00000100
	s_mov_b32 s78, 0x400                                       // 000000002FE0: BECE00FF 00000400
	s_mul_i32 s61, s78, 0                                      // 000000002FE8: 923D804E
	s_sub_u32 s56, s60, s61                                    // 000000002FEC: 80B83D3C
	s_mul_i32 s60, s3, 32                                      // 000000002FF0: 923CA003
	s_mul_i32 s60, 4, s60                                      // 000000002FF4: 923C3C84
	s_add_u32 s40, s60, s40                                    // 000000002FF8: 8028283C
	s_addc_u32 s41, 0, s41                                     // 000000002FFC: 82292980
	v_and_b32_e32 v42, 15, v0                                  // 000000003000: 2654008F
	v_lshlrev_b32_e32 v8, 2, v42                               // 000000003004: 24105482
	v_add_u32_e32 v9, 64, v8                                   // 000000003008: 681210C0
	v_lshrrev_b32_e32 v42, 4, v0                               // 00000000300C: 20540084
	v_lshlrev_b32_e32 v43, 2, v42                              // 000000003010: 24565482
	v_and_b32_e32 v42, 15, v0                                  // 000000003014: 2654008F
	v_lshrrev_b32_e32 v44, 2, v42                              // 000000003018: 20585482
	v_lshlrev_b32_e32 v44, 6, v44                              // 00000000301C: 24585886
	v_add_u32_e32 v43, v44, v43                                // 000000003020: 6856572C
	v_and_b32_e32 v42, 3, v0                                   // 000000003024: 26540083
	v_add_u32_e32 v43, v42, v43                                // 000000003028: 6856572A
	v_lshlrev_b32_e32 v10, 2, v43                              // 00000000302C: 24145682
	v_add_u32_e32 v11, 0x400, v10                              // 000000003030: 681614FF 00000400
	s_mul_i32 s60, s7, 16                                      // 000000003038: 923C9007
	s_mul_i32 s60, s60, 4                                      // 00000000303C: 923C843C
	v_add_u32_e32 v10, s60, v10                                // 000000003040: 6814143C
	v_add_u32_e32 v11, s60, v11                                // 000000003044: 6816163C
	v_mov_b32_e32 v5, v10                                      // 000000003048: 7E0A030A
	s_mul_i32 s60, s2, 64                                      // 00000000304C: 923CC002
	s_mul_i32 s60, s60, 4                                      // 000000003050: 923C843C
	s_mul_i32 s61, s5, s74                                     // 000000003054: 923D4A05
	s_add_u32 s61, s61, s60                                    // 000000003058: 803D3C3D
	s_mul_i32 s62, s5, s76                                     // 00000000305C: 923E4C05
	s_add_u32 s62, s62, s60                                    // 000000003060: 803E3C3E
	s_add_u32 s32, s61, s32                                    // 000000003064: 8020203D
	s_addc_u32 s33, 0, s33                                     // 000000003068: 82212180
	s_add_u32 s36, s62, s36                                    // 00000000306C: 8024243E
	s_addc_u32 s37, 0, s37                                     // 000000003070: 82252580
	s_mul_i32 s60, s5, s75                                     // 000000003074: 923C4B05
	s_add_u32 s16, s60, s16                                    // 000000003078: 8010103C
	s_addc_u32 s17, 0, s17                                     // 00000000307C: 82111180
	s_mov_b32 s57, 0x100                                       // 000000003080: BEB900FF 00000100
	s_mov_b32 s58, 0x1000                                      // 000000003088: BEBA00FF 00001000
	s_mov_b32 s79, 0x400                                       // 000000003090: BECF00FF 00000400
	s_mov_b32 s59, 0x200                                       // 000000003098: BEBB00FF 00000200
	s_mov_b32 s90, s58                                         // 0000000030A0: BEDA003A
	s_mov_b32 s52, 0x7060302                                   // 0000000030A4: BEB400FF 07060302
	s_mov_b32 s53, 0x400                                       // 0000000030AC: BEB500FF 00000400
	s_mov_b32 s54, 0x40100                                     // 0000000030B4: BEB600FF 00040100
	s_mov_b32 s55, 0x4020100                                   // 0000000030BC: BEB700FF 04020100
	s_mov_b32 s6, 0x3fb8aa3b                                   // 0000000030C4: BE8600FF 3FB8AA3B
	s_mov_b32 s77, 0xbd92220c                                  // 0000000030CC: BECD00FF BD92220C
	s_mov_b32 m0, s50                                          // 0000000030D4: BEFC0032
	v_mov_b32_e32 v1, 0xbfcc4231                               // 0000000030D8: 7E0202FF BFCC4231
	v_mov_b32_e32 v38, 0xffff0000                              // 0000000030E0: 7E4C02FF FFFF0000
	v_mov_b32_e32 v39, 0x7fff0000                              // 0000000030E8: 7E4E02FF 7FFF0000
	v_mov_b32_e32 v40, 0x7fff                                  // 0000000030F0: 7E5002FF 00007FFF
	s_waitcnt vmcnt(0) expcnt(0) lgkmcnt(0)                    // 0000000030F8: BF8C0000
	v_and_b32_e32 v6, 0xffffff, v6                             // 0000000030FC: 260C0CFF 00FFFFFF
	v_and_b32_e32 v7, 0xffffff, v7                             // 000000003104: 260E0EFF 00FFFFFF
	v_lshlrev_b32_e32 v6, 2, v6                                // 00000000310C: 240C0C82
	v_lshlrev_b32_e32 v7, 2, v7                                // 000000003110: 240E0E82
	buffer_load_dword v13, v6, s[28:31], 0 offen               // 000000003114: E0501000 80070D06
	buffer_load_dword v14, v7, s[28:31], 0 offen               // 00000000311C: E0501000 80070E07
	buffer_load_dword v15, v10, s[32:35], 0 offen              // 000000003124: E0501000 80080F0A
	buffer_load_dword v16, v11, s[32:35], 0 offen              // 00000000312C: E0501000 8008100B
	s_mul_i32 s60, 4, s65                                      // 000000003134: 923C4184
	s_add_u32 s32, s60, s32                                    // 000000003138: 8020203C
	s_addc_u32 s33, 0, s33                                     // 00000000313C: 82212180
	buffer_load_dword v41, v10, s[32:35], 0 offen              // 000000003140: E0501000 8008290A
	buffer_load_dword v42, v11, s[32:35], 0 offen              // 000000003148: E0501000 80082A0B
	buffer_load_dword v17, v8, s[40:43], 0 offen               // 000000003150: E0501000 800A1108
	buffer_load_dword v18, v9, s[40:43], 0 offen               // 000000003158: E0501000 800A1209
	buffer_load_dword v24, s[20:23], 0 offen lds               // 000000003160: E0511000 80050018
	s_add_u32 m0, 0x100, s50                                   // 000000003168: 807C32FF 00000100
	buffer_load_dword v25, s[20:23], 0 offen lds               // 000000003170: E0511000 80050019
	s_add_u32 m0, 0x200, s50                                   // 000000003178: 807C32FF 00000200
	buffer_load_dword v26, s[20:23], 0 offen lds               // 000000003180: E0511000 8005001A
	s_add_u32 m0, 0x300, s50                                   // 000000003188: 807C32FF 00000300
	buffer_load_dword v27, s[20:23], 0 offen lds               // 000000003190: E0511000 8005001B
	s_add_u32 m0, 0x400, s50                                   // 000000003198: 807C32FF 00000400
	buffer_load_dword v28, s[20:23], 0 offen lds               // 0000000031A0: E0511000 8005001C
	s_add_u32 m0, 0x500, s50                                   // 0000000031A8: 807C32FF 00000500
	buffer_load_dword v29, s[20:23], 0 offen lds               // 0000000031B0: E0511000 8005001D
	s_add_u32 m0, 0x600, s50                                   // 0000000031B8: 807C32FF 00000600
	buffer_load_dword v30, s[20:23], 0 offen lds               // 0000000031C0: E0511000 8005001E
	s_add_u32 m0, 0x700, s50                                   // 0000000031C8: 807C32FF 00000700
	buffer_load_dword v31, s[20:23], 0 offen lds               // 0000000031D0: E0511000 8005001F
	s_add_u32 m0, 0, s51                                       // 0000000031D8: 807C3380
	s_add_u32 s20, s57, s20                                    // 0000000031DC: 80141439
	s_addc_u32 s21, 0, s21                                     // 0000000031E0: 82151580
	buffer_load_dwordx4 a[0:3], v32, s[24:27], 0 offen         // 0000000031E4: E05C1000 80860020
	buffer_load_dwordx4 a[4:7], v32, s[24:27], 0 offen offset:1024// 0000000031EC: E05C1400 80860420
	buffer_load_dwordx4 a[8:11], v32, s[24:27], 0 offen offset:2048// 0000000031F4: E05C1800 80860820
	buffer_load_dwordx4 a[12:15], v32, s[24:27], 0 offen offset:3072// 0000000031FC: E05C1C00 80860C20
	s_add_u32 s24, s58, s24                                    // 000000003204: 8018183A
	s_addc_u32 s25, 0, s25                                     // 000000003208: 82191980
	v_mov_b32_e32 v128, 0                                      // 00000000320C: 7F000280
	v_mov_b32_e32 v64, 0                                       // 000000003210: 7E800280
	v_mov_b32_e32 v129, 0                                      // 000000003214: 7F020280
	v_mov_b32_e32 v65, 0                                       // 000000003218: 7E820280
	v_mov_b32_e32 v130, 0                                      // 00000000321C: 7F040280
	v_mov_b32_e32 v66, 0                                       // 000000003220: 7E840280
	v_mov_b32_e32 v131, 0                                      // 000000003224: 7F060280
	v_mov_b32_e32 v67, 0                                       // 000000003228: 7E860280
	v_mov_b32_e32 v132, 0                                      // 00000000322C: 7F080280
	v_mov_b32_e32 v68, 0                                       // 000000003230: 7E880280
	v_mov_b32_e32 v133, 0                                      // 000000003234: 7F0A0280
	v_mov_b32_e32 v69, 0                                       // 000000003238: 7E8A0280
	v_mov_b32_e32 v134, 0                                      // 00000000323C: 7F0C0280
	v_mov_b32_e32 v70, 0                                       // 000000003240: 7E8C0280
	v_mov_b32_e32 v135, 0                                      // 000000003244: 7F0E0280
	v_mov_b32_e32 v71, 0                                       // 000000003248: 7E8E0280
	v_lshrrev_b32_e32 v42, 4, v0                               // 00000000324C: 20540084
	v_mul_i32_i24_e32 v3, 34, v42                              // 000000003250: 0C0654A2
	v_and_b32_e32 v42, 15, v0                                  // 000000003254: 2654008F
	v_mul_i32_i24_e32 v43, 2, v42                              // 000000003258: 0C565482
	v_add_u32_e32 v3, v43, v3                                  // 00000000325C: 6806072B
	s_mul_i32 s60, s7, 0x88                                    // 000000003260: 923CFF07 00000088
	v_add_u32_e32 v3, s60, v3                                  // 000000003268: 6806063C
	v_lshlrev_b32_e32 v3, 2, v3                                // 00000000326C: 24060682
	v_lshrrev_b32_e32 v42, 1, v0                               // 000000003270: 20540081
	v_mul_i32_i24_e32 v4, 34, v42                              // 000000003274: 0C0854A2
	v_and_b32_e32 v43, 1, v0                                   // 000000003278: 26560081
	v_add_u32_e32 v4, v43, v4                                  // 00000000327C: 6808092B
	s_mul_i32 s60, s7, 2                                       // 000000003280: 923C8207
	v_add_u32_e32 v4, s60, v4                                  // 000000003284: 6808083C
	v_lshlrev_b32_e32 v4, 2, v4                                // 000000003288: 24080882
	s_waitcnt vmcnt(4)                                         // 00000000328C: BF8C0F74
	s_barrier                                                  // 000000003290: BF8A0000
	ds_read_b128 v[136:139], v2                                // 000000003294: D9FE0000 88000002
	ds_read_b128 v[140:143], v2 offset:64                      // 00000000329C: D9FE0040 8C000002
	ds_read_b128 v[144:147], v2 offset:128                     // 0000000032A4: D9FE0080 90000002
	ds_read_b128 v[148:151], v2 offset:192                     // 0000000032AC: D9FE00C0 94000002
	ds_read_b128 v[152:155], v2 offset:1024                    // 0000000032B4: D9FE0400 98000002
	ds_read_b128 v[156:159], v2 offset:1088                    // 0000000032BC: D9FE0440 9C000002
	ds_read_b128 v[160:163], v2 offset:1152                    // 0000000032C4: D9FE0480 A0000002
	ds_read_b128 v[164:167], v2 offset:1216                    // 0000000032CC: D9FE04C0 A4000002
	s_cmp_lt_i32 s7, 2                                         // 0000000032D4: BF048207
	s_cbranch_scc0 label_0877                                  // 0000000032D8: BF840680

00000000000032dc <label_01F7>:
	s_waitcnt vmcnt(0) lgkmcnt(0)                              // 0000000032DC: BF8C0070
	s_barrier                                                  // 0000000032E0: BF8A0000
	v_mfma_f32_16x16x32_fp8_fp8 v[128:131], a[0:1], v[136:137], v[128:131]// 0000000032E4: D3F30080 0E031100
	v_mfma_f32_16x16x32_fp8_fp8 v[128:131], a[2:3], v[138:139], v[128:131]// 0000000032EC: D3F30080 0E031502
	buffer_load_dwordx4 a[16:19], v32, s[92:95], 0 offen       // 0000000032F4: E05C1000 80971020
	v_mfma_f32_16x16x32_fp8_fp8 v[128:131], a[4:5], v[140:141], v[128:131]// 0000000032FC: D3F30080 0E031904
	v_mfma_f32_16x16x32_fp8_fp8 v[128:131], a[6:7], v[142:143], v[128:131]// 000000003304: D3F30080 0E031D06
	buffer_load_dword v24, s[20:23], 0 offen lds               // 00000000330C: E0511000 80050018
	s_add_u32 m0, 0x100, s51                                   // 000000003314: 807C33FF 00000100
	buffer_load_dword v25, s[20:23], 0 offen lds               // 00000000331C: E0511000 80050019
	s_add_u32 m0, 0x200, s51                                   // 000000003324: 807C33FF 00000200
	v_mfma_f32_16x16x32_fp8_fp8 v[128:131], a[8:9], v[144:145], v[128:131]// 00000000332C: D3F30080 0E032108
	v_mfma_f32_16x16x32_fp8_fp8 v[128:131], a[10:11], v[146:147], v[128:131]// 000000003334: D3F30080 0E03250A
	buffer_load_dwordx4 a[20:23], v32, s[92:95], 0 offen offset:1024// 00000000333C: E05C1400 80971420
	v_mfma_f32_16x16x32_fp8_fp8 v[128:131], a[12:13], v[148:149], v[128:131]// 000000003344: D3F30080 0E03290C
	v_mfma_f32_16x16x32_fp8_fp8 v[128:131], a[14:15], v[150:151], v[128:131]// 00000000334C: D3F30080 0E032D0E
	buffer_load_dword v26, s[20:23], 0 offen lds               // 000000003354: E0511000 8005001A
	s_add_u32 m0, 0x300, s51                                   // 00000000335C: 807C33FF 00000300
	buffer_load_dword v27, s[20:23], 0 offen lds               // 000000003364: E0511000 8005001B
	s_add_u32 m0, 0x400, s51                                   // 00000000336C: 807C33FF 00000400
	v_mfma_f32_16x16x32_fp8_fp8 v[132:135], a[0:1], v[152:153], v[132:135]// 000000003374: D3F30084 0E133100
	v_mfma_f32_16x16x32_fp8_fp8 v[132:135], a[2:3], v[154:155], v[132:135]// 00000000337C: D3F30084 0E133502
	buffer_load_dwordx4 a[24:27], v32, s[92:95], 0 offen offset:2048// 000000003384: E05C1800 80971820
	v_mfma_f32_16x16x32_fp8_fp8 v[132:135], a[4:5], v[156:157], v[132:135]// 00000000338C: D3F30084 0E133904
	v_mfma_f32_16x16x32_fp8_fp8 v[132:135], a[6:7], v[158:159], v[132:135]// 000000003394: D3F30084 0E133D06
	buffer_load_dword v28, s[20:23], 0 offen lds               // 00000000339C: E0511000 8005001C
	s_add_u32 m0, 0x500, s51                                   // 0000000033A4: 807C33FF 00000500
	buffer_load_dword v29, s[20:23], 0 offen lds               // 0000000033AC: E0511000 8005001D
	s_add_u32 m0, 0x600, s51                                   // 0000000033B4: 807C33FF 00000600
	v_mfma_f32_16x16x32_fp8_fp8 v[132:135], a[8:9], v[160:161], v[132:135]// 0000000033BC: D3F30084 0E134108
	v_mfma_f32_16x16x32_fp8_fp8 v[132:135], a[10:11], v[162:163], v[132:135]// 0000000033C4: D3F30084 0E13450A
	buffer_load_dwordx4 a[28:31], v32, s[92:95], 0 offen offset:3072// 0000000033CC: E05C1C00 80971C20
	v_mfma_f32_16x16x32_fp8_fp8 v[132:135], a[12:13], v[164:165], v[132:135]// 0000000033D4: D3F30084 0E13490C
	v_mfma_f32_16x16x32_fp8_fp8 v[132:135], a[14:15], v[166:167], v[132:135]// 0000000033DC: D3F30084 0E134D0E
	buffer_load_dword v30, s[20:23], 0 offen lds               // 0000000033E4: E0511000 8005001E
	s_add_u32 m0, 0x700, s51                                   // 0000000033EC: 807C33FF 00000700
	buffer_load_dword v31, s[20:23], 0 offen lds               // 0000000033F4: E0511000 8005001F
	s_add_u32 m0, 0, s50                                       // 0000000033FC: 807C3280
	s_waitcnt vmcnt(0)                                         // 000000003400: BF8C0F70
	s_barrier                                                  // 000000003404: BF8A0000
	v_mfma_f32_16x16x32_fp8_fp8 v[64:67], a[16:17], v[136:137], v[64:67]// 000000003408: D3F30040 0D031110
	v_mfma_f32_16x16x32_fp8_fp8 v[64:67], a[18:19], v[138:139], v[64:67]// 000000003410: D3F30040 0D031512
	buffer_load_dwordx4 a[0:3], v32, s[24:27], 0 offen         // 000000003418: E05C1000 80860020
	v_mfma_f32_16x16x32_fp8_fp8 v[64:67], a[20:21], v[140:141], v[64:67]// 000000003420: D3F30040 0D031914
	v_mfma_f32_16x16x32_fp8_fp8 v[64:67], a[22:23], v[142:143], v[64:67]// 000000003428: D3F30040 0D031D16
	ds_read_b128 v[168:171], v2 offset:8320                    // 000000003430: D9FE2080 A8000002
	ds_read_b128 v[172:175], v2 offset:8384                    // 000000003438: D9FE20C0 AC000002
	v_mfma_f32_16x16x32_fp8_fp8 v[64:67], a[24:25], v[144:145], v[64:67]// 000000003440: D3F30040 0D032118
	v_mfma_f32_16x16x32_fp8_fp8 v[64:67], a[26:27], v[146:147], v[64:67]// 000000003448: D3F30040 0D03251A
	buffer_load_dwordx4 a[4:7], v32, s[24:27], 0 offen offset:1024// 000000003450: E05C1400 80860420
	v_mfma_f32_16x16x32_fp8_fp8 v[64:67], a[28:29], v[148:149], v[64:67]// 000000003458: D3F30040 0D03291C
	v_mfma_f32_16x16x32_fp8_fp8 v[64:67], a[30:31], v[150:151], v[64:67]// 000000003460: D3F30040 0D032D1E
	ds_read_b128 v[176:179], v2 offset:8448                    // 000000003468: D9FE2100 B0000002
	ds_read_b128 v[180:183], v2 offset:8512                    // 000000003470: D9FE2140 B4000002
	v_mfma_f32_16x16x32_fp8_fp8 v[68:71], a[16:17], v[152:153], v[68:71]// 000000003478: D3F30044 0D133110
	v_mfma_f32_16x16x32_fp8_fp8 v[68:71], a[18:19], v[154:155], v[68:71]// 000000003480: D3F30044 0D133512
	buffer_load_dwordx4 a[8:11], v32, s[24:27], 0 offen offset:2048// 000000003488: E05C1800 80860820
	v_mfma_f32_16x16x32_fp8_fp8 v[68:71], a[20:21], v[156:157], v[68:71]// 000000003490: D3F30044 0D133914
	v_mfma_f32_16x16x32_fp8_fp8 v[68:71], a[22:23], v[158:159], v[68:71]// 000000003498: D3F30044 0D133D16
	ds_read_b128 v[184:187], v2 offset:9344                    // 0000000034A0: D9FE2480 B8000002
	ds_read_b128 v[188:191], v2 offset:9408                    // 0000000034A8: D9FE24C0 BC000002
	v_mfma_f32_16x16x32_fp8_fp8 v[68:71], a[24:25], v[160:161], v[68:71]// 0000000034B0: D3F30044 0D134118
	v_mfma_f32_16x16x32_fp8_fp8 v[68:71], a[26:27], v[162:163], v[68:71]// 0000000034B8: D3F30044 0D13451A
	buffer_load_dwordx4 a[12:15], v32, s[24:27], 0 offen offset:3072// 0000000034C0: E05C1C00 80860C20
	v_mfma_f32_16x16x32_fp8_fp8 v[68:71], a[28:29], v[164:165], v[68:71]// 0000000034C8: D3F30044 0D13491C
	v_mfma_f32_16x16x32_fp8_fp8 v[68:71], a[30:31], v[166:167], v[68:71]// 0000000034D0: D3F30044 0D134D1E
	ds_read_b128 v[192:195], v2 offset:9472                    // 0000000034D8: D9FE2500 C0000002
	ds_read_b128 v[196:199], v2 offset:9536                    // 0000000034E0: D9FE2540 C4000002
	s_add_u32 s60, 0x200, s80                                  // 0000000034E8: 803C50FF 00000200
	s_cmp_lt_u32 s60, s81                                      // 0000000034F0: BF0A513C
	s_cselect_b32 s57, s57, 0                                  // 0000000034F4: 85398039
	s_add_u32 s60, 0x200, s80                                  // 0000000034F8: 803C50FF 00000200
	s_cmp_lt_u32 s60, s81                                      // 000000003500: BF0A513C
	s_cselect_b32 s58, s58, 0                                  // 000000003504: 853A803A
	s_add_u32 s20, s57, s20                                    // 000000003508: 80141439
	s_addc_u32 s21, 0, s21                                     // 00000000350C: 82151580
	s_add_u32 s24, s58, s24                                    // 000000003510: 8018183A
	s_addc_u32 s25, 0, s25                                     // 000000003514: 82191980
	s_add_u32 s92, s90, s92                                    // 000000003518: 805C5C5A
	s_addc_u32 s93, 0, s93                                     // 00000000351C: 825D5D80
	s_addk_i32 s80, 0x100                                      // 000000003520: B7500100
	s_cmp_lt_i32 s80, s81                                      // 000000003524: BF045150
	s_cbranch_scc0 label_0320                                  // 000000003528: BF840095
	s_waitcnt vmcnt(0) lgkmcnt(0)                              // 00000000352C: BF8C0070
	s_barrier                                                  // 000000003530: BF8A0000
	v_mfma_f32_16x16x32_fp8_fp8 v[128:131], a[0:1], v[168:169], v[128:131]// 000000003534: D3F30080 0E035100
	v_mfma_f32_16x16x32_fp8_fp8 v[128:131], a[2:3], v[170:171], v[128:131]// 00000000353C: D3F30080 0E035502
	buffer_load_dwordx4 a[16:19], v32, s[92:95], 0 offen       // 000000003544: E05C1000 80971020
	v_mfma_f32_16x16x32_fp8_fp8 v[128:131], a[4:5], v[172:173], v[128:131]// 00000000354C: D3F30080 0E035904
	v_mfma_f32_16x16x32_fp8_fp8 v[128:131], a[6:7], v[174:175], v[128:131]// 000000003554: D3F30080 0E035D06
	buffer_load_dword v24, s[20:23], 0 offen lds               // 00000000355C: E0511000 80050018
	s_add_u32 m0, 0x100, s50                                   // 000000003564: 807C32FF 00000100
	buffer_load_dword v25, s[20:23], 0 offen lds               // 00000000356C: E0511000 80050019
	s_add_u32 m0, 0x200, s50                                   // 000000003574: 807C32FF 00000200
	v_mfma_f32_16x16x32_fp8_fp8 v[128:131], a[8:9], v[176:177], v[128:131]// 00000000357C: D3F30080 0E036108
	v_mfma_f32_16x16x32_fp8_fp8 v[128:131], a[10:11], v[178:179], v[128:131]// 000000003584: D3F30080 0E03650A
	buffer_load_dwordx4 a[20:23], v32, s[92:95], 0 offen offset:1024// 00000000358C: E05C1400 80971420
	v_mfma_f32_16x16x32_fp8_fp8 v[128:131], a[12:13], v[180:181], v[128:131]// 000000003594: D3F30080 0E03690C
	v_mfma_f32_16x16x32_fp8_fp8 v[128:131], a[14:15], v[182:183], v[128:131]// 00000000359C: D3F30080 0E036D0E
	buffer_load_dword v26, s[20:23], 0 offen lds               // 0000000035A4: E0511000 8005001A
	s_add_u32 m0, 0x300, s50                                   // 0000000035AC: 807C32FF 00000300
	buffer_load_dword v27, s[20:23], 0 offen lds               // 0000000035B4: E0511000 8005001B
	s_add_u32 m0, 0x400, s50                                   // 0000000035BC: 807C32FF 00000400
	v_mfma_f32_16x16x32_fp8_fp8 v[132:135], a[0:1], v[184:185], v[132:135]// 0000000035C4: D3F30084 0E137100
	v_mfma_f32_16x16x32_fp8_fp8 v[132:135], a[2:3], v[186:187], v[132:135]// 0000000035CC: D3F30084 0E137502
	buffer_load_dwordx4 a[24:27], v32, s[92:95], 0 offen offset:2048// 0000000035D4: E05C1800 80971820
	v_mfma_f32_16x16x32_fp8_fp8 v[132:135], a[4:5], v[188:189], v[132:135]// 0000000035DC: D3F30084 0E137904
	v_mfma_f32_16x16x32_fp8_fp8 v[132:135], a[6:7], v[190:191], v[132:135]// 0000000035E4: D3F30084 0E137D06
	buffer_load_dword v28, s[20:23], 0 offen lds               // 0000000035EC: E0511000 8005001C
	s_add_u32 m0, 0x500, s50                                   // 0000000035F4: 807C32FF 00000500
	buffer_load_dword v29, s[20:23], 0 offen lds               // 0000000035FC: E0511000 8005001D
	s_add_u32 m0, 0x600, s50                                   // 000000003604: 807C32FF 00000600
	v_mfma_f32_16x16x32_fp8_fp8 v[132:135], a[8:9], v[192:193], v[132:135]// 00000000360C: D3F30084 0E138108
	v_mfma_f32_16x16x32_fp8_fp8 v[132:135], a[10:11], v[194:195], v[132:135]// 000000003614: D3F30084 0E13850A
	buffer_load_dwordx4 a[28:31], v32, s[92:95], 0 offen offset:3072// 00000000361C: E05C1C00 80971C20
	v_mfma_f32_16x16x32_fp8_fp8 v[132:135], a[12:13], v[196:197], v[132:135]// 000000003624: D3F30084 0E13890C
	v_mfma_f32_16x16x32_fp8_fp8 v[132:135], a[14:15], v[198:199], v[132:135]// 00000000362C: D3F30084 0E138D0E
	buffer_load_dword v30, s[20:23], 0 offen lds               // 000000003634: E0511000 8005001E
	s_add_u32 m0, 0x700, s50                                   // 00000000363C: 807C32FF 00000700
	buffer_load_dword v31, s[20:23], 0 offen lds               // 000000003644: E0511000 8005001F
	s_add_u32 m0, 0, s51                                       // 00000000364C: 807C3380
	s_waitcnt vmcnt(0)                                         // 000000003650: BF8C0F70
	s_barrier                                                  // 000000003654: BF8A0000
	v_mfma_f32_16x16x32_fp8_fp8 v[64:67], a[16:17], v[168:169], v[64:67]// 000000003658: D3F30040 0D035110
	v_mfma_f32_16x16x32_fp8_fp8 v[64:67], a[18:19], v[170:171], v[64:67]// 000000003660: D3F30040 0D035512
	buffer_load_dwordx4 a[0:3], v32, s[24:27], 0 offen         // 000000003668: E05C1000 80860020
	v_mfma_f32_16x16x32_fp8_fp8 v[64:67], a[20:21], v[172:173], v[64:67]// 000000003670: D3F30040 0D035914
	v_mfma_f32_16x16x32_fp8_fp8 v[64:67], a[22:23], v[174:175], v[64:67]// 000000003678: D3F30040 0D035D16
	ds_read_b128 v[136:139], v2                                // 000000003680: D9FE0000 88000002
	ds_read_b128 v[140:143], v2 offset:64                      // 000000003688: D9FE0040 8C000002
	v_mfma_f32_16x16x32_fp8_fp8 v[64:67], a[24:25], v[176:177], v[64:67]// 000000003690: D3F30040 0D036118
	v_mfma_f32_16x16x32_fp8_fp8 v[64:67], a[26:27], v[178:179], v[64:67]// 000000003698: D3F30040 0D03651A
	buffer_load_dwordx4 a[4:7], v32, s[24:27], 0 offen offset:1024// 0000000036A0: E05C1400 80860420
	v_mfma_f32_16x16x32_fp8_fp8 v[64:67], a[28:29], v[180:181], v[64:67]// 0000000036A8: D3F30040 0D03691C
	v_mfma_f32_16x16x32_fp8_fp8 v[64:67], a[30:31], v[182:183], v[64:67]// 0000000036B0: D3F30040 0D036D1E
	ds_read_b128 v[144:147], v2 offset:128                     // 0000000036B8: D9FE0080 90000002
	ds_read_b128 v[148:151], v2 offset:192                     // 0000000036C0: D9FE00C0 94000002
	v_mfma_f32_16x16x32_fp8_fp8 v[68:71], a[16:17], v[184:185], v[68:71]// 0000000036C8: D3F30044 0D137110
	v_mfma_f32_16x16x32_fp8_fp8 v[68:71], a[18:19], v[186:187], v[68:71]// 0000000036D0: D3F30044 0D137512
	buffer_load_dwordx4 a[8:11], v32, s[24:27], 0 offen offset:2048// 0000000036D8: E05C1800 80860820
	v_mfma_f32_16x16x32_fp8_fp8 v[68:71], a[20:21], v[188:189], v[68:71]// 0000000036E0: D3F30044 0D137914
	v_mfma_f32_16x16x32_fp8_fp8 v[68:71], a[22:23], v[190:191], v[68:71]// 0000000036E8: D3F30044 0D137D16
	ds_read_b128 v[152:155], v2 offset:1024                    // 0000000036F0: D9FE0400 98000002
	ds_read_b128 v[156:159], v2 offset:1088                    // 0000000036F8: D9FE0440 9C000002
	v_mfma_f32_16x16x32_fp8_fp8 v[68:71], a[24:25], v[192:193], v[68:71]// 000000003700: D3F30044 0D138118
	v_mfma_f32_16x16x32_fp8_fp8 v[68:71], a[26:27], v[194:195], v[68:71]// 000000003708: D3F30044 0D13851A
	buffer_load_dwordx4 a[12:15], v32, s[24:27], 0 offen offset:3072// 000000003710: E05C1C00 80860C20
	v_mfma_f32_16x16x32_fp8_fp8 v[68:71], a[28:29], v[196:197], v[68:71]// 000000003718: D3F30044 0D13891C
	v_mfma_f32_16x16x32_fp8_fp8 v[68:71], a[30:31], v[198:199], v[68:71]// 000000003720: D3F30044 0D138D1E
	ds_read_b128 v[160:163], v2 offset:1152                    // 000000003728: D9FE0480 A0000002
	ds_read_b128 v[164:167], v2 offset:1216                    // 000000003730: D9FE04C0 A4000002
	s_add_u32 s60, 0x200, s80                                  // 000000003738: 803C50FF 00000200
	s_cmp_lt_u32 s60, s81                                      // 000000003740: BF0A513C
	s_cselect_b32 s57, s57, 0                                  // 000000003744: 85398039
	s_add_u32 s60, 0x200, s80                                  // 000000003748: 803C50FF 00000200
	s_cmp_lt_u32 s60, s81                                      // 000000003750: BF0A513C
	s_cselect_b32 s58, s58, 0                                  // 000000003754: 853A803A
	s_add_u32 s20, s57, s20                                    // 000000003758: 80141439
	s_addc_u32 s21, 0, s21                                     // 00000000375C: 82151580
	s_add_u32 s24, s58, s24                                    // 000000003760: 8018183A
	s_addc_u32 s25, 0, s25                                     // 000000003764: 82191980
	s_add_u32 s92, s90, s92                                    // 000000003768: 805C5C5A
	s_addc_u32 s93, 0, s93                                     // 00000000376C: 825D5D80
	s_addk_i32 s80, 0x100                                      // 000000003770: B7500100
	s_cmp_lt_i32 s80, s81                                      // 000000003774: BF045150
	s_cbranch_scc0 label_0320                                  // 000000003778: BF840001
	s_branch label_01F7                                        // 00000000377C: BF82FED7

0000000000003780 <label_0320>:
	s_mov_b32 s36, -1                                          // 000000003780: BEA400C1
	s_mov_b32 s37, -1                                          // 000000003784: BEA500C1
	s_mov_b64 s[60:61], 0                                      // 000000003788: BEBC0180
	s_cmp_lt_u32 s82, s66                                      // 00000000378C: BF0A4252
	s_cselect_b64 s[20:21], s[36:37], s[60:61]                 // 000000003790: 85943C24
	s_cmp_lt_u32 s83, s66                                      // 000000003794: BF0A4253
	s_cselect_b64 s[22:23], s[36:37], s[60:61]                 // 000000003798: 85963C24
	s_cmp_lt_u32 s84, s66                                      // 00000000379C: BF0A4254
	s_cselect_b64 s[24:25], s[36:37], s[60:61]                 // 0000000037A0: 85983C24
	s_cmp_lt_u32 s85, s66                                      // 0000000037A4: BF0A4255
	s_cselect_b64 s[26:27], s[36:37], s[60:61]                 // 0000000037A8: 859A3C24
	s_cmp_lt_u32 s86, s66                                      // 0000000037AC: BF0A4256
	s_cselect_b64 s[28:29], s[36:37], s[60:61]                 // 0000000037B0: 859C3C24
	s_cmp_lt_u32 s87, s66                                      // 0000000037B4: BF0A4257
	s_cselect_b64 s[30:31], s[36:37], s[60:61]                 // 0000000037B8: 859E3C24
	s_cmp_lt_u32 s88, s66                                      // 0000000037BC: BF0A4258
	s_cselect_b64 s[32:33], s[36:37], s[60:61]                 // 0000000037C0: 85A03C24
	s_cmp_lt_u32 s89, s66                                      // 0000000037C4: BF0A4259
	s_cselect_b64 s[34:35], s[36:37], s[60:61]                 // 0000000037C8: 85A23C24
	v_mul_f32_e32 v128, v13, v128                              // 0000000037CC: 0B01010D
	v_mul_f32_e32 v128, v17, v128                              // 0000000037D0: 0B010111
	v_mul_f32_e32 v129, v13, v129                              // 0000000037D4: 0B03030D
	v_mul_f32_e32 v129, v17, v129                              // 0000000037D8: 0B030311
	v_mul_f32_e32 v130, v13, v130                              // 0000000037DC: 0B05050D
	v_mul_f32_e32 v130, v17, v130                              // 0000000037E0: 0B050511
	v_mul_f32_e32 v131, v13, v131                              // 0000000037E4: 0B07070D
	v_mul_f32_e32 v131, v17, v131                              // 0000000037E8: 0B070711
	v_mul_f32_dpp v128, v15, v128 row_newbcast:0 row_mask:0xf bank_mask:0xf// 0000000037EC: 0B0100FA FF01500F
	v_mul_f32_dpp v129, v15, v129 row_newbcast:1 row_mask:0xf bank_mask:0xf// 0000000037F4: 0B0302FA FF01510F
	v_mul_f32_dpp v130, v15, v130 row_newbcast:2 row_mask:0xf bank_mask:0xf// 0000000037FC: 0B0504FA FF01520F
	v_mul_f32_dpp v131, v15, v131 row_newbcast:3 row_mask:0xf bank_mask:0xf// 000000003804: 0B0706FA FF01530F
	v_mul_f32_e32 v132, v14, v132                              // 00000000380C: 0B09090E
	v_mul_f32_e32 v132, v18, v132                              // 000000003810: 0B090912
	v_mul_f32_e32 v133, v14, v133                              // 000000003814: 0B0B0B0E
	v_mul_f32_e32 v133, v18, v133                              // 000000003818: 0B0B0B12
	v_mul_f32_e32 v134, v14, v134                              // 00000000381C: 0B0D0D0E
	v_mul_f32_e32 v134, v18, v134                              // 000000003820: 0B0D0D12
	v_mul_f32_e32 v135, v14, v135                              // 000000003824: 0B0F0F0E
	v_mul_f32_e32 v135, v18, v135                              // 000000003828: 0B0F0F12
	v_mul_f32_dpp v132, v15, v132 row_newbcast:0 row_mask:0xf bank_mask:0xf// 00000000382C: 0B0908FA FF01500F
	v_mul_f32_dpp v133, v15, v133 row_newbcast:1 row_mask:0xf bank_mask:0xf// 000000003834: 0B0B0AFA FF01510F
	v_mul_f32_dpp v134, v15, v134 row_newbcast:2 row_mask:0xf bank_mask:0xf// 00000000383C: 0B0D0CFA FF01520F
	v_mul_f32_dpp v135, v15, v135 row_newbcast:3 row_mask:0xf bank_mask:0xf// 000000003844: 0B0F0EFA FF01530F
	v_mul_f32_e32 v64, v13, v64                                // 00000000384C: 0A80810D
	v_mul_f32_e32 v64, v17, v64                                // 000000003850: 0A808111
	v_mul_f32_e32 v65, v13, v65                                // 000000003854: 0A82830D
	v_mul_f32_e32 v65, v17, v65                                // 000000003858: 0A828311
	v_mul_f32_e32 v66, v13, v66                                // 00000000385C: 0A84850D
	v_mul_f32_e32 v66, v17, v66                                // 000000003860: 0A848511
	v_mul_f32_e32 v67, v13, v67                                // 000000003864: 0A86870D
	v_mul_f32_e32 v67, v17, v67                                // 000000003868: 0A868711
	v_mul_f32_dpp v64, v41, v64 row_newbcast:0 row_mask:0xf bank_mask:0xf// 00000000386C: 0A8080FA FF015029
	v_mul_f32_dpp v65, v41, v65 row_newbcast:1 row_mask:0xf bank_mask:0xf// 000000003874: 0A8282FA FF015129
	v_mul_f32_dpp v66, v41, v66 row_newbcast:2 row_mask:0xf bank_mask:0xf// 00000000387C: 0A8484FA FF015229
	v_mul_f32_dpp v67, v41, v67 row_newbcast:3 row_mask:0xf bank_mask:0xf// 000000003884: 0A8686FA FF015329
	v_mul_f32_e32 v68, v14, v68                                // 00000000388C: 0A88890E
	v_mul_f32_e32 v68, v18, v68                                // 000000003890: 0A888912
	v_mul_f32_e32 v69, v14, v69                                // 000000003894: 0A8A8B0E
	v_mul_f32_e32 v69, v18, v69                                // 000000003898: 0A8A8B12
	v_mul_f32_e32 v70, v14, v70                                // 00000000389C: 0A8C8D0E
	v_mul_f32_e32 v70, v18, v70                                // 0000000038A0: 0A8C8D12
	v_mul_f32_e32 v71, v14, v71                                // 0000000038A4: 0A8E8F0E
	v_mul_f32_e32 v71, v18, v71                                // 0000000038A8: 0A8E8F12
	v_mul_f32_dpp v68, v41, v68 row_newbcast:0 row_mask:0xf bank_mask:0xf// 0000000038AC: 0A8888FA FF015029
	v_mul_f32_dpp v69, v41, v69 row_newbcast:1 row_mask:0xf bank_mask:0xf// 0000000038B4: 0A8A8AFA FF015129
	v_mul_f32_dpp v70, v41, v70 row_newbcast:2 row_mask:0xf bank_mask:0xf// 0000000038BC: 0A8C8CFA FF015229
	v_mul_f32_dpp v71, v41, v71 row_newbcast:3 row_mask:0xf bank_mask:0xf// 0000000038C4: 0A8E8EFA FF015329
	s_waitcnt vmcnt(0)                                         // 0000000038CC: BF8C0F70
	buffer_load_dwordx4 a[0:3], v33, s[12:15], 0 offen         // 0000000038D0: E05C1000 80830021
	v_mul_f32_e32 v42, v128, v128                              // 0000000038D8: 0A550180
	v_mul_f32_e32 v43, v129, v129                              // 0000000038DC: 0A570381
	v_mul_f32_e32 v44, v130, v130                              // 0000000038E0: 0A590582
	v_mul_f32_e32 v45, v131, v131                              // 0000000038E4: 0A5B0783
	v_fma_f32 v42, v42, s77, v1                                // 0000000038E8: D1CB002A 04049B2A
	v_fma_f32 v43, v43, s77, v1                                // 0000000038F0: D1CB002B 04049B2B
	v_fma_f32 v44, v44, s77, v1                                // 0000000038F8: D1CB002C 04049B2C
	v_fma_f32 v45, v45, s77, v1                                // 000000003900: D1CB002D 04049B2D
	v_mul_f32_e32 v42, v42, v128                               // 000000003908: 0A55012A
	v_mul_f32_e32 v43, v43, v129                               // 00000000390C: 0A57032B
	v_mul_f32_e32 v44, v44, v130                               // 000000003910: 0A59052C
	v_mul_f32_e32 v45, v45, v131                               // 000000003914: 0A5B072D
	v_mul_f32_e64 v42, v42, s6                                 // 000000003918: D105002A 00000D2A
	v_mul_f32_e64 v43, v43, s6                                 // 000000003920: D105002B 00000D2B
	v_mul_f32_e64 v44, v44, s6                                 // 000000003928: D105002C 00000D2C
	v_mul_f32_e64 v45, v45, s6                                 // 000000003930: D105002D 00000D2D
	v_exp_f32_e32 v42, v42                                     // 000000003938: 7E54412A
	v_exp_f32_e32 v43, v43                                     // 00000000393C: 7E56412B
	v_exp_f32_e32 v44, v44                                     // 000000003940: 7E58412C
	v_exp_f32_e32 v45, v45                                     // 000000003944: 7E5A412D
	buffer_load_dwordx4 a[4:7], v34, s[12:15], 0 offen         // 000000003948: E05C1000 80830422
	v_add_f32_e64 v42, v42, 1.0                                // 000000003950: D101002A 0001E52A
	v_add_f32_e64 v43, v43, 1.0                                // 000000003958: D101002B 0001E52B
	v_add_f32_e64 v44, v44, 1.0                                // 000000003960: D101002C 0001E52C
	v_add_f32_e64 v45, v45, 1.0                                // 000000003968: D101002D 0001E52D
	v_rcp_f32_e32 v42, v42                                     // 000000003970: 7E54452A
	v_rcp_f32_e32 v43, v43                                     // 000000003974: 7E56452B
	v_rcp_f32_e32 v44, v44                                     // 000000003978: 7E58452C
	v_rcp_f32_e32 v45, v45                                     // 00000000397C: 7E5A452D
	v_mul_f32_e32 v128, v128, v42                              // 000000003980: 0B005580
	v_mul_f32_e32 v129, v129, v43                              // 000000003984: 0B025781
	v_mul_f32_e32 v130, v130, v44                              // 000000003988: 0B045982
	v_mul_f32_e32 v131, v131, v45                              // 00000000398C: 0B065B83
	v_mul_f32_e32 v128, v128, v64                              // 000000003990: 0B008180
	v_mul_f32_e32 v129, v129, v65                              // 000000003994: 0B028381
	v_mul_f32_e32 v130, v130, v66                              // 000000003998: 0B048582
	v_mul_f32_e32 v131, v131, v67                              // 00000000399C: 0B068783
	buffer_load_dwordx4 a[8:11], v35, s[12:15], 0 offen        // 0000000039A0: E05C1000 80830823
	v_mul_f32_e32 v42, v132, v132                              // 0000000039A8: 0A550984
	v_mul_f32_e32 v43, v133, v133                              // 0000000039AC: 0A570B85
	v_mul_f32_e32 v44, v134, v134                              // 0000000039B0: 0A590D86
	v_mul_f32_e32 v45, v135, v135                              // 0000000039B4: 0A5B0F87
	v_fma_f32 v42, v42, s77, v1                                // 0000000039B8: D1CB002A 04049B2A
	v_fma_f32 v43, v43, s77, v1                                // 0000000039C0: D1CB002B 04049B2B
	v_fma_f32 v44, v44, s77, v1                                // 0000000039C8: D1CB002C 04049B2C
	v_fma_f32 v45, v45, s77, v1                                // 0000000039D0: D1CB002D 04049B2D
	v_mul_f32_e32 v42, v42, v132                               // 0000000039D8: 0A55092A
	v_mul_f32_e32 v43, v43, v133                               // 0000000039DC: 0A570B2B
	v_mul_f32_e32 v44, v44, v134                               // 0000000039E0: 0A590D2C
	v_mul_f32_e32 v45, v45, v135                               // 0000000039E4: 0A5B0F2D
	v_mul_f32_e64 v42, v42, s6                                 // 0000000039E8: D105002A 00000D2A
	v_mul_f32_e64 v43, v43, s6                                 // 0000000039F0: D105002B 00000D2B
	v_mul_f32_e64 v44, v44, s6                                 // 0000000039F8: D105002C 00000D2C
	v_mul_f32_e64 v45, v45, s6                                 // 000000003A00: D105002D 00000D2D
	v_exp_f32_e32 v42, v42                                     // 000000003A08: 7E54412A
	v_exp_f32_e32 v43, v43                                     // 000000003A0C: 7E56412B
	v_exp_f32_e32 v44, v44                                     // 000000003A10: 7E58412C
	v_exp_f32_e32 v45, v45                                     // 000000003A14: 7E5A412D
	buffer_load_dwordx4 a[12:15], v36, s[12:15], 0 offen       // 000000003A18: E05C1000 80830C24
	v_add_f32_e64 v42, v42, 1.0                                // 000000003A20: D101002A 0001E52A
	v_add_f32_e64 v43, v43, 1.0                                // 000000003A28: D101002B 0001E52B
	v_add_f32_e64 v44, v44, 1.0                                // 000000003A30: D101002C 0001E52C
	v_add_f32_e64 v45, v45, 1.0                                // 000000003A38: D101002D 0001E52D
	v_rcp_f32_e32 v42, v42                                     // 000000003A40: 7E54452A
	v_rcp_f32_e32 v43, v43                                     // 000000003A44: 7E56452B
	v_rcp_f32_e32 v44, v44                                     // 000000003A48: 7E58452C
	v_rcp_f32_e32 v45, v45                                     // 000000003A4C: 7E5A452D
	v_mul_f32_e32 v132, v132, v42                              // 000000003A50: 0B085584
	v_mul_f32_e32 v133, v133, v43                              // 000000003A54: 0B0A5785
	v_mul_f32_e32 v134, v134, v44                              // 000000003A58: 0B0C5986
	v_mul_f32_e32 v135, v135, v45                              // 000000003A5C: 0B0E5B87
	v_mul_f32_e32 v132, v132, v68                              // 000000003A60: 0B088984
	v_mul_f32_e32 v133, v133, v69                              // 000000003A64: 0B0A8B85
	v_mul_f32_e32 v134, v134, v70                              // 000000003A68: 0B0C8D86
	v_mul_f32_e32 v135, v135, v71                              // 000000003A6C: 0B0E8F87
	v_lshlrev_b32_e32 v42, 2, v0                               // 000000003A70: 24540082
	s_mul_i32 s60, s82, s71                                    // 000000003A74: 923C4752
	v_add_u32_e64 v80, v42, s60                                // 000000003A78: D1340050 0000792A
	v_mov_b32_e32 v81, 0                                       // 000000003A80: 7EA20280
	s_mul_i32 s60, s83, s71                                    // 000000003A84: 923C4753
	v_add_u32_e64 v82, v42, s60                                // 000000003A88: D1340052 0000792A
	v_mov_b32_e32 v83, 0                                       // 000000003A90: 7EA60280
	s_mul_i32 s60, s84, s71                                    // 000000003A94: 923C4754
	v_add_u32_e64 v84, v42, s60                                // 000000003A98: D1340054 0000792A
	v_mov_b32_e32 v85, 0                                       // 000000003AA0: 7EAA0280
	s_mul_i32 s60, s85, s71                                    // 000000003AA4: 923C4755
	v_add_u32_e64 v86, v42, s60                                // 000000003AA8: D1340056 0000792A
	v_mov_b32_e32 v87, 0                                       // 000000003AB0: 7EAE0280
	s_mul_i32 s60, s86, s71                                    // 000000003AB4: 923C4756
	v_add_u32_e64 v88, v42, s60                                // 000000003AB8: D1340058 0000792A
	v_mov_b32_e32 v89, 0                                       // 000000003AC0: 7EB20280
	s_mul_i32 s60, s87, s71                                    // 000000003AC4: 923C4757
	v_add_u32_e64 v90, v42, s60                                // 000000003AC8: D134005A 0000792A
	v_mov_b32_e32 v91, 0                                       // 000000003AD0: 7EB60280
	s_mul_i32 s60, s88, s71                                    // 000000003AD4: 923C4758
	v_add_u32_e64 v92, v42, s60                                // 000000003AD8: D134005C 0000792A
	v_mov_b32_e32 v93, 0                                       // 000000003AE0: 7EBA0280
	s_mul_i32 s60, s89, s71                                    // 000000003AE4: 923C4759
	v_add_u32_e64 v94, v42, s60                                // 000000003AE8: D134005E 0000792A
	v_mov_b32_e32 v95, 0                                       // 000000003AF0: 7EBE0280
	buffer_load_dword v11, v5, s[16:19], 0 offen               // 000000003AF4: E0501000 80040B05
	v_mov_b32_e32 v20, 0x358637bd                              // 000000003AFC: 7E2802FF 358637BD
	v_mov_b32_e32 v21, 0x358637bd                              // 000000003B04: 7E2A02FF 358637BD
	v_max3_f32 v20, |v128|, |v129|, v20                        // 000000003B0C: D1D30314 04530380
	v_max3_f32 v20, |v130|, |v131|, v20                        // 000000003B14: D1D30314 04530782
	v_max3_f32 v21, |v132|, |v133|, v21                        // 000000003B1C: D1D30315 04570B84
	v_max3_f32 v21, |v134|, |v135|, v21                        // 000000003B24: D1D30315 04570F86
	v_lshlrev_b32_e32 v42, 3, v0                               // 000000003B2C: 24540083
	s_mul_i32 s60, 0x200, s7                                   // 000000003B30: 923C07FF 00000200
	v_add_u32_e32 v42, s60, v42                                // 000000003B38: 6854543C
	ds_write_b64 v42, v[20:21] offset:16640                    // 000000003B3C: D89A4100 0000142A
	s_waitcnt lgkmcnt(0)                                       // 000000003B44: BF8CC07F
	s_barrier                                                  // 000000003B48: BF8A0000
	v_and_b32_e32 v42, 15, v0                                  // 000000003B4C: 2654008F
	v_lshlrev_b32_e32 v42, 3, v42                              // 000000003B50: 24545483
	ds_read_b64 v[96:97], v42 offset:16640                     // 000000003B54: D8EC4100 6000002A
	ds_read_b64 v[98:99], v42 offset:16768                     // 000000003B5C: D8EC4180 6200002A
	ds_read_b64 v[100:101], v42 offset:16896                   // 000000003B64: D8EC4200 6400002A
	ds_read_b64 v[102:103], v42 offset:17024                   // 000000003B6C: D8EC4280 6600002A
	ds_read_b64 v[104:105], v42 offset:17152                   // 000000003B74: D8EC4300 6800002A
	ds_read_b64 v[106:107], v42 offset:17280                   // 000000003B7C: D8EC4380 6A00002A
	ds_read_b64 v[108:109], v42 offset:17408                   // 000000003B84: D8EC4400 6C00002A
	ds_read_b64 v[110:111], v42 offset:17536                   // 000000003B8C: D8EC4480 6E00002A
	ds_read_b64 v[112:113], v42 offset:17664                   // 000000003B94: D8EC4500 7000002A
	ds_read_b64 v[114:115], v42 offset:17792                   // 000000003B9C: D8EC4580 7200002A
	ds_read_b64 v[116:117], v42 offset:17920                   // 000000003BA4: D8EC4600 7400002A
	ds_read_b64 v[118:119], v42 offset:18048                   // 000000003BAC: D8EC4680 7600002A
	ds_read_b64 v[120:121], v42 offset:18176                   // 000000003BB4: D8EC4700 7800002A
	ds_read_b64 v[122:123], v42 offset:18304                   // 000000003BBC: D8EC4780 7A00002A
	ds_read_b64 v[124:125], v42 offset:18432                   // 000000003BC4: D8EC4800 7C00002A
	ds_read_b64 v[126:127], v42 offset:18560                   // 000000003BCC: D8EC4880 7E00002A
	s_waitcnt lgkmcnt(0)                                       // 000000003BD4: BF8CC07F
	v_max3_f32 v20, |v96|, |v98|, v20                          // 000000003BD8: D1D30314 0452C560
	v_max3_f32 v21, |v97|, |v99|, v21                          // 000000003BE0: D1D30315 0456C761
	v_max3_f32 v20, |v100|, |v102|, v20                        // 000000003BE8: D1D30314 0452CD64
	v_max3_f32 v21, |v101|, |v103|, v21                        // 000000003BF0: D1D30315 0456CF65
	v_max3_f32 v20, |v104|, |v106|, v20                        // 000000003BF8: D1D30314 0452D568
	v_max3_f32 v21, |v105|, |v107|, v21                        // 000000003C00: D1D30315 0456D769
	v_max3_f32 v20, |v108|, |v110|, v20                        // 000000003C08: D1D30314 0452DD6C
	v_max3_f32 v21, |v109|, |v111|, v21                        // 000000003C10: D1D30315 0456DF6D
	v_max3_f32 v20, |v112|, |v114|, v20                        // 000000003C18: D1D30314 0452E570
	v_max3_f32 v21, |v113|, |v115|, v21                        // 000000003C20: D1D30315 0456E771
	v_max3_f32 v20, |v116|, |v118|, v20                        // 000000003C28: D1D30314 0452ED74
	v_max3_f32 v21, |v117|, |v119|, v21                        // 000000003C30: D1D30315 0456EF75
	v_max3_f32 v20, |v120|, |v122|, v20                        // 000000003C38: D1D30314 0452F578
	v_max3_f32 v21, |v121|, |v123|, v21                        // 000000003C40: D1D30315 0456F779
	v_max3_f32 v20, |v124|, |v126|, v20                        // 000000003C48: D1D30314 0452FD7C
	v_max3_f32 v21, |v125|, |v127|, v21                        // 000000003C50: D1D30315 0456FF7D
	v_rcp_f32_e32 v20, v20                                     // 000000003C58: 7E284514
	v_rcp_f32_e32 v21, v21                                     // 000000003C5C: 7E2A4515
	v_mov_b32_e32 v42, 0x43700000                              // 000000003C60: 7E5402FF 43700000
	v_mul_f32_e32 v20, v42, v20                                // 000000003C68: 0A28292A
	v_mul_f32_e32 v21, v42, v21                                // 000000003C6C: 0A2A2B2A
	v_mul_f32_e32 v128, v20, v128                              // 000000003C70: 0B010114
	v_mul_f32_e32 v129, v20, v129                              // 000000003C74: 0B030314
	v_mul_f32_e32 v130, v20, v130                              // 000000003C78: 0B050514
	v_mul_f32_e32 v131, v20, v131                              // 000000003C7C: 0B070714
	v_cvt_pk_fp8_f32 v128, v128, v129                          // 000000003C80: D2A20080 00030380
	v_cvt_pk_fp8_f32 v128, v130, v131 op_sel:[0,0,1]           // 000000003C88: D2A24080 00030782
	v_mul_f32_e32 v132, v21, v132                              // 000000003C90: 0B090915
	v_mul_f32_e32 v133, v21, v133                              // 000000003C94: 0B0B0B15
	v_mul_f32_e32 v134, v21, v134                              // 000000003C98: 0B0D0D15
	v_mul_f32_e32 v135, v21, v135                              // 000000003C9C: 0B0F0F15
	v_cvt_pk_fp8_f32 v129, v132, v133                          // 000000003CA0: D2A20081 00030B84
	v_cvt_pk_fp8_f32 v129, v134, v135 op_sel:[0,0,1]           // 000000003CA8: D2A24081 00030F86
	v_rcp_f32_e32 v22, v20                                     // 000000003CB0: 7E2C4514
	v_rcp_f32_e32 v23, v21                                     // 000000003CB4: 7E2E4515
	v_lshrrev_b32_e32 v42, 5, v0                               // 000000003CB8: 20540085
	v_lshlrev_b32_e32 v43, 5, v42                              // 000000003CBC: 24565485
	v_and_b32_e32 v42, 31, v0                                  // 000000003CC0: 2654009F
	v_lshrrev_b32_e32 v44, 4, v42                              // 000000003CC4: 20585484
	v_add_u32_e32 v43, v44, v43                                // 000000003CC8: 6856572C
	v_and_b32_e32 v42, 15, v0                                  // 000000003CCC: 2654008F
	v_lshlrev_b32_e32 v42, 1, v42                              // 000000003CD0: 24545481
	v_add_u32_e32 v43, v42, v43                                // 000000003CD4: 6856572A
	v_lshlrev_b32_e32 v42, 2, v43                              // 000000003CD8: 24545682
	s_mul_i32 s60, 0x100, s7                                   // 000000003CDC: 923C07FF 00000100
	v_add_u32_e64 v42, v42, s60                                // 000000003CE4: D134002A 0000792A
	ds_write_b32 v42, v128 offset:18688                        // 000000003CEC: D81A4900 0000802A
	ds_write_b32 v42, v129 offset:19712                        // 000000003CF4: D81A4D00 0000812A
	s_waitcnt lgkmcnt(0)                                       // 000000003CFC: BF8CC07F
	s_barrier                                                  // 000000003D00: BF8A0000
	v_lshrrev_b32_e32 v42, 4, v0                               // 000000003D04: 20540084
	v_lshlrev_b32_e32 v43, 6, v42                              // 000000003D08: 24565486
	v_and_b32_e32 v42, 15, v0                                  // 000000003D0C: 2654008F
	v_lshlrev_b32_e32 v42, 1, v42                              // 000000003D10: 24545481
	v_add_u32_e32 v43, v42, v43                                // 000000003D14: 6856572A
	v_lshlrev_b32_e32 v42, 2, v43                              // 000000003D18: 24545682
	ds_read_b64 v[128:129], v42 offset:18688                   // 000000003D1C: D8EC4900 8000002A
	ds_read_b64 v[130:131], v42 offset:18816                   // 000000003D24: D8EC4980 8200002A
	ds_read_b64 v[132:133], v42 offset:19712                   // 000000003D2C: D8EC4D00 8400002A
	ds_read_b64 v[134:135], v42 offset:19840                   // 000000003D34: D8EC4D80 8600002A
	s_add_u32 s12, s56, s12                                    // 000000003D3C: 800C0C38
	s_addc_u32 s13, 0, s13                                     // 000000003D40: 820D0D80
	s_add_u32 s16, s79, s16                                    // 000000003D44: 8010104F
	s_addc_u32 s17, 0, s17                                     // 000000003D48: 82111180
	s_mov_b32 s80, 0                                           // 000000003D4C: BED00080
	s_waitcnt vmcnt(0) expcnt(0) lgkmcnt(0)                    // 000000003D50: BF8C0000

0000000000003d54 <label_0495>:
	s_waitcnt vmcnt(17)                                        // 000000003D54: BF8C4F71
	s_barrier                                                  // 000000003D58: BF8A0000
	s_waitcnt vmcnt(16)                                        // 000000003D5C: BF8C4F70
	v_mfma_f32_16x16x32_fp8_fp8 v[136:139], a[0:1], v[128:129], 0// 000000003D60: D3F30088 0A030100
	v_mfma_f32_16x16x32_fp8_fp8 v[136:139], a[2:3], v[130:131], v[136:139]// 000000003D68: D3F30088 0E230502
	buffer_load_dwordx4 a[16:19], v33, s[12:15], 0 offen       // 000000003D70: E05C1000 80831021
	v_mfma_f32_16x16x32_fp8_fp8 v[140:143], a[0:1], v[132:133], 0// 000000003D78: D3F3008C 0A030900
	v_mfma_f32_16x16x32_fp8_fp8 v[140:143], a[2:3], v[134:135], v[140:143]// 000000003D80: D3F3008C 0E330D02
	buffer_load_dword v12, v5, s[16:19], 0 offen               // 000000003D88: E0501000 80040C05
	v_mfma_f32_16x16x32_fp8_fp8 v[144:147], a[4:5], v[128:129], 0// 000000003D90: D3F30090 0A030104
	v_mfma_f32_16x16x32_fp8_fp8 v[144:147], a[6:7], v[130:131], v[144:147]// 000000003D98: D3F30090 0E430506
	buffer_load_dwordx4 a[20:23], v34, s[12:15], 0 offen       // 000000003DA0: E05C1000 80831422
	v_mfma_f32_16x16x32_fp8_fp8 v[148:151], a[4:5], v[132:133], 0// 000000003DA8: D3F30094 0A030904
	v_mfma_f32_16x16x32_fp8_fp8 v[148:151], a[6:7], v[134:135], v[148:151]// 000000003DB0: D3F30094 0E530D06
	v_mfma_f32_16x16x32_fp8_fp8 v[152:155], a[8:9], v[128:129], 0// 000000003DB8: D3F30098 0A030108
	v_mfma_f32_16x16x32_fp8_fp8 v[152:155], a[10:11], v[130:131], v[152:155]// 000000003DC0: D3F30098 0E63050A
	buffer_load_dwordx4 a[24:27], v35, s[12:15], 0 offen       // 000000003DC8: E05C1000 80831823
	v_mfma_f32_16x16x32_fp8_fp8 v[156:159], a[8:9], v[132:133], 0// 000000003DD0: D3F3009C 0A030908
	v_mfma_f32_16x16x32_fp8_fp8 v[156:159], a[10:11], v[134:135], v[156:159]// 000000003DD8: D3F3009C 0E730D0A
	v_mfma_f32_16x16x32_fp8_fp8 v[160:163], a[12:13], v[128:129], 0// 000000003DE0: D3F300A0 0A03010C
	v_mfma_f32_16x16x32_fp8_fp8 v[160:163], a[14:15], v[130:131], v[160:163]// 000000003DE8: D3F300A0 0E83050E
	buffer_load_dwordx4 a[28:31], v36, s[12:15], 0 offen       // 000000003DF0: E05C1000 80831C24
	v_mfma_f32_16x16x32_fp8_fp8 v[164:167], a[12:13], v[132:133], 0// 000000003DF8: D3F300A4 0A03090C
	v_mfma_f32_16x16x32_fp8_fp8 v[164:167], a[14:15], v[134:135], v[164:167]// 000000003E00: D3F300A4 0E930D0E
	s_add_u32 s60, 0x200, s80                                  // 000000003E08: 803C50FF 00000200
	s_cmp_lt_u32 s60, s81                                      // 000000003E10: BF0A513C
	s_cselect_b32 s56, s56, 0                                  // 000000003E14: 85388038
	s_cselect_b32 s78, s78, 0                                  // 000000003E18: 854E804E
	s_cselect_b32 s79, s79, 0                                  // 000000003E1C: 854F804F
	s_add_u32 s12, s56, s12                                    // 000000003E20: 800C0C38
	s_addc_u32 s13, 0, s13                                     // 000000003E24: 820D0D80
	s_add_u32 s16, s79, s16                                    // 000000003E28: 8010104F
	s_addc_u32 s17, 0, s17                                     // 000000003E2C: 82111180
	v_mul_f32_e32 v136, v22, v136                              // 000000003E30: 0B111116
	v_mul_f32_e32 v137, v22, v137                              // 000000003E34: 0B131316
	v_mul_f32_e32 v138, v22, v138                              // 000000003E38: 0B151516
	v_mul_f32_e32 v139, v22, v139                              // 000000003E3C: 0B171716
	v_mul_f32_dpp v136, v11, v136 row_newbcast:0 row_mask:0xf bank_mask:0xf// 000000003E40: 0B1110FA FF01500B
	v_mul_f32_dpp v137, v11, v137 row_newbcast:1 row_mask:0xf bank_mask:0xf// 000000003E48: 0B1312FA FF01510B
	v_mul_f32_dpp v138, v11, v138 row_newbcast:2 row_mask:0xf bank_mask:0xf// 000000003E50: 0B1514FA FF01520B
	v_mul_f32_dpp v139, v11, v139 row_newbcast:3 row_mask:0xf bank_mask:0xf// 000000003E58: 0B1716FA FF01530B
	v_mul_f32_e32 v140, v23, v140                              // 000000003E60: 0B191917
	v_mul_f32_e32 v141, v23, v141                              // 000000003E64: 0B1B1B17
	v_mul_f32_e32 v142, v23, v142                              // 000000003E68: 0B1D1D17
	v_mul_f32_e32 v143, v23, v143                              // 000000003E6C: 0B1F1F17
	v_mul_f32_dpp v140, v11, v140 row_newbcast:0 row_mask:0xf bank_mask:0xf// 000000003E70: 0B1918FA FF01500B
	v_mul_f32_dpp v141, v11, v141 row_newbcast:1 row_mask:0xf bank_mask:0xf// 000000003E78: 0B1B1AFA FF01510B
	v_mul_f32_dpp v142, v11, v142 row_newbcast:2 row_mask:0xf bank_mask:0xf// 000000003E80: 0B1D1CFA FF01520B
	v_mul_f32_dpp v143, v11, v143 row_newbcast:3 row_mask:0xf bank_mask:0xf// 000000003E88: 0B1F1EFA FF01530B
	v_mul_f32_e32 v144, v22, v144                              // 000000003E90: 0B212116
	v_mul_f32_e32 v145, v22, v145                              // 000000003E94: 0B232316
	v_mul_f32_e32 v146, v22, v146                              // 000000003E98: 0B252516
	v_mul_f32_e32 v147, v22, v147                              // 000000003E9C: 0B272716
	v_mul_f32_dpp v144, v11, v144 row_newbcast:4 row_mask:0xf bank_mask:0xf// 000000003EA0: 0B2120FA FF01540B
	v_mul_f32_dpp v145, v11, v145 row_newbcast:5 row_mask:0xf bank_mask:0xf// 000000003EA8: 0B2322FA FF01550B
	v_mul_f32_dpp v146, v11, v146 row_newbcast:6 row_mask:0xf bank_mask:0xf// 000000003EB0: 0B2524FA FF01560B
	v_mul_f32_dpp v147, v11, v147 row_newbcast:7 row_mask:0xf bank_mask:0xf// 000000003EB8: 0B2726FA FF01570B
	v_mul_f32_e32 v148, v23, v148                              // 000000003EC0: 0B292917
	v_mul_f32_e32 v149, v23, v149                              // 000000003EC4: 0B2B2B17
	v_mul_f32_e32 v150, v23, v150                              // 000000003EC8: 0B2D2D17
	v_mul_f32_e32 v151, v23, v151                              // 000000003ECC: 0B2F2F17
	v_mul_f32_dpp v148, v11, v148 row_newbcast:4 row_mask:0xf bank_mask:0xf// 000000003ED0: 0B2928FA FF01540B
	v_mul_f32_dpp v149, v11, v149 row_newbcast:5 row_mask:0xf bank_mask:0xf// 000000003ED8: 0B2B2AFA FF01550B
	v_mul_f32_dpp v150, v11, v150 row_newbcast:6 row_mask:0xf bank_mask:0xf// 000000003EE0: 0B2D2CFA FF01560B
	v_mul_f32_dpp v151, v11, v151 row_newbcast:7 row_mask:0xf bank_mask:0xf// 000000003EE8: 0B2F2EFA FF01570B
	v_mul_f32_e32 v152, v22, v152                              // 000000003EF0: 0B313116
	v_mul_f32_e32 v153, v22, v153                              // 000000003EF4: 0B333316
	v_mul_f32_e32 v154, v22, v154                              // 000000003EF8: 0B353516
	v_mul_f32_e32 v155, v22, v155                              // 000000003EFC: 0B373716
	v_mul_f32_dpp v152, v11, v152 row_newbcast:8 row_mask:0xf bank_mask:0xf// 000000003F00: 0B3130FA FF01580B
	v_mul_f32_dpp v153, v11, v153 row_newbcast:9 row_mask:0xf bank_mask:0xf// 000000003F08: 0B3332FA FF01590B
	v_mul_f32_dpp v154, v11, v154 row_newbcast:10 row_mask:0xf bank_mask:0xf// 000000003F10: 0B3534FA FF015A0B
	v_mul_f32_dpp v155, v11, v155 row_newbcast:11 row_mask:0xf bank_mask:0xf// 000000003F18: 0B3736FA FF015B0B
	v_mul_f32_e32 v156, v23, v156                              // 000000003F20: 0B393917
	v_mul_f32_e32 v157, v23, v157                              // 000000003F24: 0B3B3B17
	v_mul_f32_e32 v158, v23, v158                              // 000000003F28: 0B3D3D17
	v_mul_f32_e32 v159, v23, v159                              // 000000003F2C: 0B3F3F17
	v_mul_f32_dpp v156, v11, v156 row_newbcast:8 row_mask:0xf bank_mask:0xf// 000000003F30: 0B3938FA FF01580B
	v_mul_f32_dpp v157, v11, v157 row_newbcast:9 row_mask:0xf bank_mask:0xf// 000000003F38: 0B3B3AFA FF01590B
	v_mul_f32_dpp v158, v11, v158 row_newbcast:10 row_mask:0xf bank_mask:0xf// 000000003F40: 0B3D3CFA FF015A0B
	v_mul_f32_dpp v159, v11, v159 row_newbcast:11 row_mask:0xf bank_mask:0xf// 000000003F48: 0B3F3EFA FF015B0B
	v_mul_f32_e32 v160, v22, v160                              // 000000003F50: 0B414116
	v_mul_f32_e32 v161, v22, v161                              // 000000003F54: 0B434316
	v_mul_f32_e32 v162, v22, v162                              // 000000003F58: 0B454516
	v_mul_f32_e32 v163, v22, v163                              // 000000003F5C: 0B474716
	v_mul_f32_dpp v160, v11, v160 row_newbcast:12 row_mask:0xf bank_mask:0xf// 000000003F60: 0B4140FA FF015C0B
	v_mul_f32_dpp v161, v11, v161 row_newbcast:13 row_mask:0xf bank_mask:0xf// 000000003F68: 0B4342FA FF015D0B
	v_mul_f32_dpp v162, v11, v162 row_newbcast:14 row_mask:0xf bank_mask:0xf// 000000003F70: 0B4544FA FF015E0B
	v_mul_f32_dpp v163, v11, v163 row_newbcast:15 row_mask:0xf bank_mask:0xf// 000000003F78: 0B4746FA FF015F0B
	v_mul_f32_e32 v164, v23, v164                              // 000000003F80: 0B494917
	v_mul_f32_e32 v165, v23, v165                              // 000000003F84: 0B4B4B17
	v_mul_f32_e32 v166, v23, v166                              // 000000003F88: 0B4D4D17
	v_mul_f32_e32 v167, v23, v167                              // 000000003F8C: 0B4F4F17
	v_mul_f32_dpp v164, v11, v164 row_newbcast:12 row_mask:0xf bank_mask:0xf// 000000003F90: 0B4948FA FF015C0B
	v_mul_f32_dpp v165, v11, v165 row_newbcast:13 row_mask:0xf bank_mask:0xf// 000000003F98: 0B4B4AFA FF015D0B
	v_mul_f32_dpp v166, v11, v166 row_newbcast:14 row_mask:0xf bank_mask:0xf// 000000003FA0: 0B4D4CFA FF015E0B
	v_mul_f32_dpp v167, v11, v167 row_newbcast:15 row_mask:0xf bank_mask:0xf// 000000003FA8: 0B4F4EFA FF015F0B
	v_cmp_u_f32_e64 s[48:49], v136, v136                       // 000000003FB0: D0480030 00031188
	v_add3_u32 v37, v136, v40, 1                               // 000000003FB8: D1FF0025 02065188
	v_cndmask_b32_e64 v42, v37, v39, s[48:49]                  // 000000003FC0: D100002A 00C24F25
	v_cmp_u_f32_e64 s[48:49], v137, v137                       // 000000003FC8: D0480030 00031389
	v_add3_u32 v37, v137, v40, 1                               // 000000003FD0: D1FF0025 02065189
	v_cndmask_b32_e64 v43, v37, v39, s[48:49]                  // 000000003FD8: D100002B 00C24F25
	v_perm_b32 v136, v43, v42, s52                             // 000000003FE0: D1ED0088 00D2552B
	v_cmp_u_f32_e64 s[48:49], v138, v138                       // 000000003FE8: D0480030 0003158A
	v_add3_u32 v37, v138, v40, 1                               // 000000003FF0: D1FF0025 0206518A
	v_cndmask_b32_e64 v42, v37, v39, s[48:49]                  // 000000003FF8: D100002A 00C24F25
	v_cmp_u_f32_e64 s[48:49], v139, v139                       // 000000004000: D0480030 0003178B
	v_add3_u32 v37, v139, v40, 1                               // 000000004008: D1FF0025 0206518B
	v_cndmask_b32_e64 v43, v37, v39, s[48:49]                  // 000000004010: D100002B 00C24F25
	v_perm_b32 v137, v43, v42, s52                             // 000000004018: D1ED0089 00D2552B
	v_cmp_u_f32_e64 s[48:49], v140, v140                       // 000000004020: D0480030 0003198C
	v_add3_u32 v37, v140, v40, 1                               // 000000004028: D1FF0025 0206518C
	v_cndmask_b32_e64 v42, v37, v39, s[48:49]                  // 000000004030: D100002A 00C24F25
	v_cmp_u_f32_e64 s[48:49], v141, v141                       // 000000004038: D0480030 00031B8D
	v_add3_u32 v37, v141, v40, 1                               // 000000004040: D1FF0025 0206518D
	v_cndmask_b32_e64 v43, v37, v39, s[48:49]                  // 000000004048: D100002B 00C24F25
	v_perm_b32 v138, v43, v42, s52                             // 000000004050: D1ED008A 00D2552B
	v_cmp_u_f32_e64 s[48:49], v142, v142                       // 000000004058: D0480030 00031D8E
	v_add3_u32 v37, v142, v40, 1                               // 000000004060: D1FF0025 0206518E
	v_cndmask_b32_e64 v42, v37, v39, s[48:49]                  // 000000004068: D100002A 00C24F25
	v_cmp_u_f32_e64 s[48:49], v143, v143                       // 000000004070: D0480030 00031F8F
	v_add3_u32 v37, v143, v40, 1                               // 000000004078: D1FF0025 0206518F
	v_cndmask_b32_e64 v43, v37, v39, s[48:49]                  // 000000004080: D100002B 00C24F25
	v_perm_b32 v139, v43, v42, s52                             // 000000004088: D1ED008B 00D2552B
	v_cmp_u_f32_e64 s[48:49], v144, v144                       // 000000004090: D0480030 00032190
	v_add3_u32 v37, v144, v40, 1                               // 000000004098: D1FF0025 02065190
	v_cndmask_b32_e64 v42, v37, v39, s[48:49]                  // 0000000040A0: D100002A 00C24F25
	v_cmp_u_f32_e64 s[48:49], v145, v145                       // 0000000040A8: D0480030 00032391
	v_add3_u32 v37, v145, v40, 1                               // 0000000040B0: D1FF0025 02065191
	v_cndmask_b32_e64 v43, v37, v39, s[48:49]                  // 0000000040B8: D100002B 00C24F25
	v_perm_b32 v140, v43, v42, s52                             // 0000000040C0: D1ED008C 00D2552B
	v_cmp_u_f32_e64 s[48:49], v146, v146                       // 0000000040C8: D0480030 00032592
	v_add3_u32 v37, v146, v40, 1                               // 0000000040D0: D1FF0025 02065192
	v_cndmask_b32_e64 v42, v37, v39, s[48:49]                  // 0000000040D8: D100002A 00C24F25
	v_cmp_u_f32_e64 s[48:49], v147, v147                       // 0000000040E0: D0480030 00032793
	v_add3_u32 v37, v147, v40, 1                               // 0000000040E8: D1FF0025 02065193
	v_cndmask_b32_e64 v43, v37, v39, s[48:49]                  // 0000000040F0: D100002B 00C24F25
	v_perm_b32 v141, v43, v42, s52                             // 0000000040F8: D1ED008D 00D2552B
	v_cmp_u_f32_e64 s[48:49], v148, v148                       // 000000004100: D0480030 00032994
	v_add3_u32 v37, v148, v40, 1                               // 000000004108: D1FF0025 02065194
	v_cndmask_b32_e64 v42, v37, v39, s[48:49]                  // 000000004110: D100002A 00C24F25
	v_cmp_u_f32_e64 s[48:49], v149, v149                       // 000000004118: D0480030 00032B95
	v_add3_u32 v37, v149, v40, 1                               // 000000004120: D1FF0025 02065195
	v_cndmask_b32_e64 v43, v37, v39, s[48:49]                  // 000000004128: D100002B 00C24F25
	v_perm_b32 v142, v43, v42, s52                             // 000000004130: D1ED008E 00D2552B
	v_cmp_u_f32_e64 s[48:49], v150, v150                       // 000000004138: D0480030 00032D96
	v_add3_u32 v37, v150, v40, 1                               // 000000004140: D1FF0025 02065196
	v_cndmask_b32_e64 v42, v37, v39, s[48:49]                  // 000000004148: D100002A 00C24F25
	v_cmp_u_f32_e64 s[48:49], v151, v151                       // 000000004150: D0480030 00032F97
	v_add3_u32 v37, v151, v40, 1                               // 000000004158: D1FF0025 02065197
	v_cndmask_b32_e64 v43, v37, v39, s[48:49]                  // 000000004160: D100002B 00C24F25
	v_perm_b32 v143, v43, v42, s52                             // 000000004168: D1ED008F 00D2552B
	v_cmp_u_f32_e64 s[48:49], v152, v152                       // 000000004170: D0480030 00033198
	v_add3_u32 v37, v152, v40, 1                               // 000000004178: D1FF0025 02065198
	v_cndmask_b32_e64 v42, v37, v39, s[48:49]                  // 000000004180: D100002A 00C24F25
	v_cmp_u_f32_e64 s[48:49], v153, v153                       // 000000004188: D0480030 00033399
	v_add3_u32 v37, v153, v40, 1                               // 000000004190: D1FF0025 02065199
	v_cndmask_b32_e64 v43, v37, v39, s[48:49]                  // 000000004198: D100002B 00C24F25
	v_perm_b32 v144, v43, v42, s52                             // 0000000041A0: D1ED0090 00D2552B
	v_cmp_u_f32_e64 s[48:49], v154, v154                       // 0000000041A8: D0480030 0003359A
	v_add3_u32 v37, v154, v40, 1                               // 0000000041B0: D1FF0025 0206519A
	v_cndmask_b32_e64 v42, v37, v39, s[48:49]                  // 0000000041B8: D100002A 00C24F25
	v_cmp_u_f32_e64 s[48:49], v155, v155                       // 0000000041C0: D0480030 0003379B
	v_add3_u32 v37, v155, v40, 1                               // 0000000041C8: D1FF0025 0206519B
	v_cndmask_b32_e64 v43, v37, v39, s[48:49]                  // 0000000041D0: D100002B 00C24F25
	v_perm_b32 v145, v43, v42, s52                             // 0000000041D8: D1ED0091 00D2552B
	v_cmp_u_f32_e64 s[48:49], v156, v156                       // 0000000041E0: D0480030 0003399C
	v_add3_u32 v37, v156, v40, 1                               // 0000000041E8: D1FF0025 0206519C
	v_cndmask_b32_e64 v42, v37, v39, s[48:49]                  // 0000000041F0: D100002A 00C24F25
	v_cmp_u_f32_e64 s[48:49], v157, v157                       // 0000000041F8: D0480030 00033B9D
	v_add3_u32 v37, v157, v40, 1                               // 000000004200: D1FF0025 0206519D
	v_cndmask_b32_e64 v43, v37, v39, s[48:49]                  // 000000004208: D100002B 00C24F25
	v_perm_b32 v146, v43, v42, s52                             // 000000004210: D1ED0092 00D2552B
	v_cmp_u_f32_e64 s[48:49], v158, v158                       // 000000004218: D0480030 00033D9E
	v_add3_u32 v37, v158, v40, 1                               // 000000004220: D1FF0025 0206519E
	v_cndmask_b32_e64 v42, v37, v39, s[48:49]                  // 000000004228: D100002A 00C24F25
	v_cmp_u_f32_e64 s[48:49], v159, v159                       // 000000004230: D0480030 00033F9F
	v_add3_u32 v37, v159, v40, 1                               // 000000004238: D1FF0025 0206519F
	v_cndmask_b32_e64 v43, v37, v39, s[48:49]                  // 000000004240: D100002B 00C24F25
	v_perm_b32 v147, v43, v42, s52                             // 000000004248: D1ED0093 00D2552B
	v_cmp_u_f32_e64 s[48:49], v160, v160                       // 000000004250: D0480030 000341A0
	v_add3_u32 v37, v160, v40, 1                               // 000000004258: D1FF0025 020651A0
	v_cndmask_b32_e64 v42, v37, v39, s[48:49]                  // 000000004260: D100002A 00C24F25
	v_cmp_u_f32_e64 s[48:49], v161, v161                       // 000000004268: D0480030 000343A1
	v_add3_u32 v37, v161, v40, 1                               // 000000004270: D1FF0025 020651A1
	v_cndmask_b32_e64 v43, v37, v39, s[48:49]                  // 000000004278: D100002B 00C24F25
	v_perm_b32 v148, v43, v42, s52                             // 000000004280: D1ED0094 00D2552B
	v_cmp_u_f32_e64 s[48:49], v162, v162                       // 000000004288: D0480030 000345A2
	v_add3_u32 v37, v162, v40, 1                               // 000000004290: D1FF0025 020651A2
	v_cndmask_b32_e64 v42, v37, v39, s[48:49]                  // 000000004298: D100002A 00C24F25
	v_cmp_u_f32_e64 s[48:49], v163, v163                       // 0000000042A0: D0480030 000347A3
	v_add3_u32 v37, v163, v40, 1                               // 0000000042A8: D1FF0025 020651A3
	v_cndmask_b32_e64 v43, v37, v39, s[48:49]                  // 0000000042B0: D100002B 00C24F25
	v_perm_b32 v149, v43, v42, s52                             // 0000000042B8: D1ED0095 00D2552B
	v_cmp_u_f32_e64 s[48:49], v164, v164                       // 0000000042C0: D0480030 000349A4
	v_add3_u32 v37, v164, v40, 1                               // 0000000042C8: D1FF0025 020651A4
	v_cndmask_b32_e64 v42, v37, v39, s[48:49]                  // 0000000042D0: D100002A 00C24F25
	v_cmp_u_f32_e64 s[48:49], v165, v165                       // 0000000042D8: D0480030 00034BA5
	v_add3_u32 v37, v165, v40, 1                               // 0000000042E0: D1FF0025 020651A5
	v_cndmask_b32_e64 v43, v37, v39, s[48:49]                  // 0000000042E8: D100002B 00C24F25
	v_perm_b32 v150, v43, v42, s52                             // 0000000042F0: D1ED0096 00D2552B
	v_cmp_u_f32_e64 s[48:49], v166, v166                       // 0000000042F8: D0480030 00034DA6
	v_add3_u32 v37, v166, v40, 1                               // 000000004300: D1FF0025 020651A6
	v_cndmask_b32_e64 v42, v37, v39, s[48:49]                  // 000000004308: D100002A 00C24F25
	v_cmp_u_f32_e64 s[48:49], v167, v167                       // 000000004310: D0480030 00034FA7
	v_add3_u32 v37, v167, v40, 1                               // 000000004318: D1FF0025 020651A7
	v_cndmask_b32_e64 v43, v37, v39, s[48:49]                  // 000000004320: D100002B 00C24F25
	v_perm_b32 v151, v43, v42, s52                             // 000000004328: D1ED0097 00D2552B
	ds_write_b64 v3, v[136:137] offset:20736                   // 000000004330: D89A5100 00008803
	ds_write_b64 v3, v[138:139] offset:29440                   // 000000004338: D89A7300 00008A03
	ds_write_b64 v3, v[140:141] offset:22912                   // 000000004340: D89A5980 00008C03
	ds_write_b64 v3, v[142:143] offset:31616                   // 000000004348: D89A7B80 00008E03
	ds_write_b64 v3, v[144:145] offset:25088                   // 000000004350: D89A6200 00009003
	ds_write_b64 v3, v[146:147] offset:33792                   // 000000004358: D89A8400 00009203
	ds_write_b64 v3, v[148:149] offset:27264                   // 000000004360: D89A6A80 00009403
	ds_write_b64 v3, v[150:151] offset:35968                   // 000000004368: D89A8C80 00009603
	s_waitcnt lgkmcnt(0)                                       // 000000004370: BF8CC07F
	s_barrier                                                  // 000000004374: BF8A0000
	ds_read_b32 v64, v4 offset:20736                           // 000000004378: D86C5100 40000004
	ds_read_b32 v65, v4 offset:25088                           // 000000004380: D86C6200 41000004
	ds_read_b32 v66, v4 offset:20768                           // 000000004388: D86C5120 42000004
	ds_read_b32 v67, v4 offset:25120                           // 000000004390: D86C6220 43000004
	ds_read_b32 v68, v4 offset:20800                           // 000000004398: D86C5140 44000004
	ds_read_b32 v69, v4 offset:25152                           // 0000000043A0: D86C6240 45000004
	ds_read_b32 v70, v4 offset:20832                           // 0000000043A8: D86C5160 46000004
	ds_read_b32 v71, v4 offset:25184                           // 0000000043B0: D86C6260 47000004
	ds_read_b32 v72, v4 offset:29440                           // 0000000043B8: D86C7300 48000004
	ds_read_b32 v73, v4 offset:33792                           // 0000000043C0: D86C8400 49000004
	ds_read_b32 v74, v4 offset:29472                           // 0000000043C8: D86C7320 4A000004
	ds_read_b32 v75, v4 offset:33824                           // 0000000043D0: D86C8420 4B000004
	ds_read_b32 v76, v4 offset:29504                           // 0000000043D8: D86C7340 4C000004
	ds_read_b32 v77, v4 offset:33856                           // 0000000043E0: D86C8440 4D000004
	ds_read_b32 v78, v4 offset:29536                           // 0000000043E8: D86C7360 4E000004
	ds_read_b32 v79, v4 offset:33888                           // 0000000043F0: D86C8460 4F000004
	s_waitcnt lgkmcnt(0)                                       // 0000000043F8: BF8CC07F
	s_mov_b64 exec, s[20:21]                                   // 0000000043FC: BEFE0114
	global_atomic_pk_add_bf16 v80, v64, s[8:9]                 // 000000004400: DD488000 00084050
	s_mov_b64 exec, s[36:37]                                   // 000000004408: BEFE0124
	s_mov_b64 exec, s[20:21]                                   // 00000000440C: BEFE0114
	global_atomic_pk_add_bf16 v80, v65, s[8:9] offset:256      // 000000004410: DD488100 00084150
	s_mov_b64 exec, s[36:37]                                   // 000000004418: BEFE0124
	s_mov_b64 exec, s[22:23]                                   // 00000000441C: BEFE0116
	global_atomic_pk_add_bf16 v82, v66, s[8:9]                 // 000000004420: DD488000 00084252
	s_mov_b64 exec, s[36:37]                                   // 000000004428: BEFE0124
	s_mov_b64 exec, s[22:23]                                   // 00000000442C: BEFE0116
	global_atomic_pk_add_bf16 v82, v67, s[8:9] offset:256      // 000000004430: DD488100 00084352
	s_mov_b64 exec, s[36:37]                                   // 000000004438: BEFE0124
	s_mov_b64 exec, s[24:25]                                   // 00000000443C: BEFE0118
	global_atomic_pk_add_bf16 v84, v68, s[8:9]                 // 000000004440: DD488000 00084454
	s_mov_b64 exec, s[36:37]                                   // 000000004448: BEFE0124
	s_mov_b64 exec, s[24:25]                                   // 00000000444C: BEFE0118
	global_atomic_pk_add_bf16 v84, v69, s[8:9] offset:256      // 000000004450: DD488100 00084554
	s_mov_b64 exec, s[36:37]                                   // 000000004458: BEFE0124
	s_mov_b64 exec, s[26:27]                                   // 00000000445C: BEFE011A
	global_atomic_pk_add_bf16 v86, v70, s[8:9]                 // 000000004460: DD488000 00084656
	s_mov_b64 exec, s[36:37]                                   // 000000004468: BEFE0124
	s_mov_b64 exec, s[26:27]                                   // 00000000446C: BEFE011A
	global_atomic_pk_add_bf16 v86, v71, s[8:9] offset:256      // 000000004470: DD488100 00084756
	s_mov_b64 exec, s[36:37]                                   // 000000004478: BEFE0124
	s_mov_b64 exec, s[28:29]                                   // 00000000447C: BEFE011C
	global_atomic_pk_add_bf16 v88, v72, s[8:9]                 // 000000004480: DD488000 00084858
	s_mov_b64 exec, s[36:37]                                   // 000000004488: BEFE0124
	s_mov_b64 exec, s[28:29]                                   // 00000000448C: BEFE011C
	global_atomic_pk_add_bf16 v88, v73, s[8:9] offset:256      // 000000004490: DD488100 00084958
	s_mov_b64 exec, s[36:37]                                   // 000000004498: BEFE0124
	s_mov_b64 exec, s[30:31]                                   // 00000000449C: BEFE011E
	global_atomic_pk_add_bf16 v90, v74, s[8:9]                 // 0000000044A0: DD488000 00084A5A
	s_mov_b64 exec, s[36:37]                                   // 0000000044A8: BEFE0124
	s_mov_b64 exec, s[30:31]                                   // 0000000044AC: BEFE011E
	global_atomic_pk_add_bf16 v90, v75, s[8:9] offset:256      // 0000000044B0: DD488100 00084B5A
	s_mov_b64 exec, s[36:37]                                   // 0000000044B8: BEFE0124
	s_mov_b64 exec, s[32:33]                                   // 0000000044BC: BEFE0120
	global_atomic_pk_add_bf16 v92, v76, s[8:9]                 // 0000000044C0: DD488000 00084C5C
	s_mov_b64 exec, s[36:37]                                   // 0000000044C8: BEFE0124
	s_mov_b64 exec, s[32:33]                                   // 0000000044CC: BEFE0120
	global_atomic_pk_add_bf16 v92, v77, s[8:9] offset:256      // 0000000044D0: DD488100 00084D5C
	s_mov_b64 exec, s[36:37]                                   // 0000000044D8: BEFE0124
	s_mov_b64 exec, s[34:35]                                   // 0000000044DC: BEFE0122
	global_atomic_pk_add_bf16 v94, v78, s[8:9]                 // 0000000044E0: DD488000 00084E5E
	s_mov_b64 exec, s[36:37]                                   // 0000000044E8: BEFE0124
	s_mov_b64 exec, s[34:35]                                   // 0000000044EC: BEFE0122
	global_atomic_pk_add_bf16 v94, v79, s[8:9] offset:256      // 0000000044F0: DD488100 00084F5E
	s_mov_b64 exec, s[36:37]                                   // 0000000044F8: BEFE0124
	s_add_u32 s8, s59, s8                                      // 0000000044FC: 8008083B
	s_addc_u32 s9, 0, s9                                       // 000000004500: 82090980
	s_addk_i32 s80, 0x100                                      // 000000004504: B7500100
	s_cmp_lt_i32 s80, s81                                      // 000000004508: BF045150
	s_cbranch_scc0 label_0874                                  // 00000000450C: BF8401F0
	s_waitcnt vmcnt(17)                                        // 000000004510: BF8C4F71
	s_barrier                                                  // 000000004514: BF8A0000
	s_waitcnt vmcnt(16)                                        // 000000004518: BF8C4F70
	v_mfma_f32_16x16x32_fp8_fp8 v[168:171], a[16:17], v[128:129], 0// 00000000451C: D3F300A8 0A030110
	v_mfma_f32_16x16x32_fp8_fp8 v[168:171], a[18:19], v[130:131], v[168:171]// 000000004524: D3F300A8 0EA30512
	buffer_load_dwordx4 a[0:3], v33, s[12:15], 0 offen         // 00000000452C: E05C1000 80830021
	v_mfma_f32_16x16x32_fp8_fp8 v[172:175], a[16:17], v[132:133], 0// 000000004534: D3F300AC 0A030910
	v_mfma_f32_16x16x32_fp8_fp8 v[172:175], a[18:19], v[134:135], v[172:175]// 00000000453C: D3F300AC 0EB30D12
	buffer_load_dword v11, v5, s[16:19], 0 offen               // 000000004544: E0501000 80040B05
	v_mfma_f32_16x16x32_fp8_fp8 v[176:179], a[20:21], v[128:129], 0// 00000000454C: D3F300B0 0A030114
	v_mfma_f32_16x16x32_fp8_fp8 v[176:179], a[22:23], v[130:131], v[176:179]// 000000004554: D3F300B0 0EC30516
	buffer_load_dwordx4 a[4:7], v34, s[12:15], 0 offen         // 00000000455C: E05C1000 80830422
	v_mfma_f32_16x16x32_fp8_fp8 v[180:183], a[20:21], v[132:133], 0// 000000004564: D3F300B4 0A030914
	v_mfma_f32_16x16x32_fp8_fp8 v[180:183], a[22:23], v[134:135], v[180:183]// 00000000456C: D3F300B4 0ED30D16
	v_mfma_f32_16x16x32_fp8_fp8 v[184:187], a[24:25], v[128:129], 0// 000000004574: D3F300B8 0A030118
	v_mfma_f32_16x16x32_fp8_fp8 v[184:187], a[26:27], v[130:131], v[184:187]// 00000000457C: D3F300B8 0EE3051A
	buffer_load_dwordx4 a[8:11], v35, s[12:15], 0 offen        // 000000004584: E05C1000 80830823
	v_mfma_f32_16x16x32_fp8_fp8 v[188:191], a[24:25], v[132:133], 0// 00000000458C: D3F300BC 0A030918
	v_mfma_f32_16x16x32_fp8_fp8 v[188:191], a[26:27], v[134:135], v[188:191]// 000000004594: D3F300BC 0EF30D1A
	v_mfma_f32_16x16x32_fp8_fp8 v[192:195], a[28:29], v[128:129], 0// 00000000459C: D3F300C0 0A03011C
	v_mfma_f32_16x16x32_fp8_fp8 v[192:195], a[30:31], v[130:131], v[192:195]// 0000000045A4: D3F300C0 0F03051E
	buffer_load_dwordx4 a[12:15], v36, s[12:15], 0 offen       // 0000000045AC: E05C1000 80830C24
	v_mfma_f32_16x16x32_fp8_fp8 v[196:199], a[28:29], v[132:133], 0// 0000000045B4: D3F300C4 0A03091C
	v_mfma_f32_16x16x32_fp8_fp8 v[196:199], a[30:31], v[134:135], v[196:199]// 0000000045BC: D3F300C4 0F130D1E
	s_add_u32 s60, 0x200, s80                                  // 0000000045C4: 803C50FF 00000200
	s_cmp_lt_u32 s60, s81                                      // 0000000045CC: BF0A513C
	s_cselect_b32 s56, s56, 0                                  // 0000000045D0: 85388038
	s_cselect_b32 s78, s78, 0                                  // 0000000045D4: 854E804E
	s_cselect_b32 s79, s79, 0                                  // 0000000045D8: 854F804F
	s_add_u32 s12, s56, s12                                    // 0000000045DC: 800C0C38
	s_addc_u32 s13, 0, s13                                     // 0000000045E0: 820D0D80
	s_add_u32 s16, s79, s16                                    // 0000000045E4: 8010104F
	s_addc_u32 s17, 0, s17                                     // 0000000045E8: 82111180
	v_mul_f32_e32 v168, v22, v168                              // 0000000045EC: 0B515116
	v_mul_f32_e32 v169, v22, v169                              // 0000000045F0: 0B535316
	v_mul_f32_e32 v170, v22, v170                              // 0000000045F4: 0B555516
	v_mul_f32_e32 v171, v22, v171                              // 0000000045F8: 0B575716
	v_mul_f32_dpp v168, v12, v168 row_newbcast:0 row_mask:0xf bank_mask:0xf// 0000000045FC: 0B5150FA FF01500C
	v_mul_f32_dpp v169, v12, v169 row_newbcast:1 row_mask:0xf bank_mask:0xf// 000000004604: 0B5352FA FF01510C
	v_mul_f32_dpp v170, v12, v170 row_newbcast:2 row_mask:0xf bank_mask:0xf// 00000000460C: 0B5554FA FF01520C
	v_mul_f32_dpp v171, v12, v171 row_newbcast:3 row_mask:0xf bank_mask:0xf// 000000004614: 0B5756FA FF01530C
	v_mul_f32_e32 v172, v23, v172                              // 00000000461C: 0B595917
	v_mul_f32_e32 v173, v23, v173                              // 000000004620: 0B5B5B17
	v_mul_f32_e32 v174, v23, v174                              // 000000004624: 0B5D5D17
	v_mul_f32_e32 v175, v23, v175                              // 000000004628: 0B5F5F17
	v_mul_f32_dpp v172, v12, v172 row_newbcast:0 row_mask:0xf bank_mask:0xf// 00000000462C: 0B5958FA FF01500C
	v_mul_f32_dpp v173, v12, v173 row_newbcast:1 row_mask:0xf bank_mask:0xf// 000000004634: 0B5B5AFA FF01510C
	v_mul_f32_dpp v174, v12, v174 row_newbcast:2 row_mask:0xf bank_mask:0xf// 00000000463C: 0B5D5CFA FF01520C
	v_mul_f32_dpp v175, v12, v175 row_newbcast:3 row_mask:0xf bank_mask:0xf// 000000004644: 0B5F5EFA FF01530C
	v_mul_f32_e32 v176, v22, v176                              // 00000000464C: 0B616116
	v_mul_f32_e32 v177, v22, v177                              // 000000004650: 0B636316
	v_mul_f32_e32 v178, v22, v178                              // 000000004654: 0B656516
	v_mul_f32_e32 v179, v22, v179                              // 000000004658: 0B676716
	v_mul_f32_dpp v176, v12, v176 row_newbcast:4 row_mask:0xf bank_mask:0xf// 00000000465C: 0B6160FA FF01540C
	v_mul_f32_dpp v177, v12, v177 row_newbcast:5 row_mask:0xf bank_mask:0xf// 000000004664: 0B6362FA FF01550C
	v_mul_f32_dpp v178, v12, v178 row_newbcast:6 row_mask:0xf bank_mask:0xf// 00000000466C: 0B6564FA FF01560C
	v_mul_f32_dpp v179, v12, v179 row_newbcast:7 row_mask:0xf bank_mask:0xf// 000000004674: 0B6766FA FF01570C
	v_mul_f32_e32 v180, v23, v180                              // 00000000467C: 0B696917
	v_mul_f32_e32 v181, v23, v181                              // 000000004680: 0B6B6B17
	v_mul_f32_e32 v182, v23, v182                              // 000000004684: 0B6D6D17
	v_mul_f32_e32 v183, v23, v183                              // 000000004688: 0B6F6F17
	v_mul_f32_dpp v180, v12, v180 row_newbcast:4 row_mask:0xf bank_mask:0xf// 00000000468C: 0B6968FA FF01540C
	v_mul_f32_dpp v181, v12, v181 row_newbcast:5 row_mask:0xf bank_mask:0xf// 000000004694: 0B6B6AFA FF01550C
	v_mul_f32_dpp v182, v12, v182 row_newbcast:6 row_mask:0xf bank_mask:0xf// 00000000469C: 0B6D6CFA FF01560C
	v_mul_f32_dpp v183, v12, v183 row_newbcast:7 row_mask:0xf bank_mask:0xf// 0000000046A4: 0B6F6EFA FF01570C
	v_mul_f32_e32 v184, v22, v184                              // 0000000046AC: 0B717116
	v_mul_f32_e32 v185, v22, v185                              // 0000000046B0: 0B737316
	v_mul_f32_e32 v186, v22, v186                              // 0000000046B4: 0B757516
	v_mul_f32_e32 v187, v22, v187                              // 0000000046B8: 0B777716
	v_mul_f32_dpp v184, v12, v184 row_newbcast:8 row_mask:0xf bank_mask:0xf// 0000000046BC: 0B7170FA FF01580C
	v_mul_f32_dpp v185, v12, v185 row_newbcast:9 row_mask:0xf bank_mask:0xf// 0000000046C4: 0B7372FA FF01590C
	v_mul_f32_dpp v186, v12, v186 row_newbcast:10 row_mask:0xf bank_mask:0xf// 0000000046CC: 0B7574FA FF015A0C
	v_mul_f32_dpp v187, v12, v187 row_newbcast:11 row_mask:0xf bank_mask:0xf// 0000000046D4: 0B7776FA FF015B0C
	v_mul_f32_e32 v188, v23, v188                              // 0000000046DC: 0B797917
	v_mul_f32_e32 v189, v23, v189                              // 0000000046E0: 0B7B7B17
	v_mul_f32_e32 v190, v23, v190                              // 0000000046E4: 0B7D7D17
	v_mul_f32_e32 v191, v23, v191                              // 0000000046E8: 0B7F7F17
	v_mul_f32_dpp v188, v12, v188 row_newbcast:8 row_mask:0xf bank_mask:0xf// 0000000046EC: 0B7978FA FF01580C
	v_mul_f32_dpp v189, v12, v189 row_newbcast:9 row_mask:0xf bank_mask:0xf// 0000000046F4: 0B7B7AFA FF01590C
	v_mul_f32_dpp v190, v12, v190 row_newbcast:10 row_mask:0xf bank_mask:0xf// 0000000046FC: 0B7D7CFA FF015A0C
	v_mul_f32_dpp v191, v12, v191 row_newbcast:11 row_mask:0xf bank_mask:0xf// 000000004704: 0B7F7EFA FF015B0C
	v_mul_f32_e32 v192, v22, v192                              // 00000000470C: 0B818116
	v_mul_f32_e32 v193, v22, v193                              // 000000004710: 0B838316
	v_mul_f32_e32 v194, v22, v194                              // 000000004714: 0B858516
	v_mul_f32_e32 v195, v22, v195                              // 000000004718: 0B878716
	v_mul_f32_dpp v192, v12, v192 row_newbcast:12 row_mask:0xf bank_mask:0xf// 00000000471C: 0B8180FA FF015C0C
	v_mul_f32_dpp v193, v12, v193 row_newbcast:13 row_mask:0xf bank_mask:0xf// 000000004724: 0B8382FA FF015D0C
	v_mul_f32_dpp v194, v12, v194 row_newbcast:14 row_mask:0xf bank_mask:0xf// 00000000472C: 0B8584FA FF015E0C
	v_mul_f32_dpp v195, v12, v195 row_newbcast:15 row_mask:0xf bank_mask:0xf// 000000004734: 0B8786FA FF015F0C
	v_mul_f32_e32 v196, v23, v196                              // 00000000473C: 0B898917
	v_mul_f32_e32 v197, v23, v197                              // 000000004740: 0B8B8B17
	v_mul_f32_e32 v198, v23, v198                              // 000000004744: 0B8D8D17
	v_mul_f32_e32 v199, v23, v199                              // 000000004748: 0B8F8F17
	v_mul_f32_dpp v196, v12, v196 row_newbcast:12 row_mask:0xf bank_mask:0xf// 00000000474C: 0B8988FA FF015C0C
	v_mul_f32_dpp v197, v12, v197 row_newbcast:13 row_mask:0xf bank_mask:0xf// 000000004754: 0B8B8AFA FF015D0C
	v_mul_f32_dpp v198, v12, v198 row_newbcast:14 row_mask:0xf bank_mask:0xf// 00000000475C: 0B8D8CFA FF015E0C
	v_mul_f32_dpp v199, v12, v199 row_newbcast:15 row_mask:0xf bank_mask:0xf// 000000004764: 0B8F8EFA FF015F0C
	v_cmp_u_f32_e64 s[48:49], v168, v168                       // 00000000476C: D0480030 000351A8
	v_add3_u32 v37, v168, v40, 1                               // 000000004774: D1FF0025 020651A8
	v_cndmask_b32_e64 v42, v37, v39, s[48:49]                  // 00000000477C: D100002A 00C24F25
	v_cmp_u_f32_e64 s[48:49], v169, v169                       // 000000004784: D0480030 000353A9
	v_add3_u32 v37, v169, v40, 1                               // 00000000478C: D1FF0025 020651A9
	v_cndmask_b32_e64 v43, v37, v39, s[48:49]                  // 000000004794: D100002B 00C24F25
	v_perm_b32 v168, v43, v42, s52                             // 00000000479C: D1ED00A8 00D2552B
	v_cmp_u_f32_e64 s[48:49], v170, v170                       // 0000000047A4: D0480030 000355AA
	v_add3_u32 v37, v170, v40, 1                               // 0000000047AC: D1FF0025 020651AA
	v_cndmask_b32_e64 v42, v37, v39, s[48:49]                  // 0000000047B4: D100002A 00C24F25
	v_cmp_u_f32_e64 s[48:49], v171, v171                       // 0000000047BC: D0480030 000357AB
	v_add3_u32 v37, v171, v40, 1                               // 0000000047C4: D1FF0025 020651AB
	v_cndmask_b32_e64 v43, v37, v39, s[48:49]                  // 0000000047CC: D100002B 00C24F25
	v_perm_b32 v169, v43, v42, s52                             // 0000000047D4: D1ED00A9 00D2552B
	v_cmp_u_f32_e64 s[48:49], v172, v172                       // 0000000047DC: D0480030 000359AC
	v_add3_u32 v37, v172, v40, 1                               // 0000000047E4: D1FF0025 020651AC
	v_cndmask_b32_e64 v42, v37, v39, s[48:49]                  // 0000000047EC: D100002A 00C24F25
	v_cmp_u_f32_e64 s[48:49], v173, v173                       // 0000000047F4: D0480030 00035BAD
	v_add3_u32 v37, v173, v40, 1                               // 0000000047FC: D1FF0025 020651AD
	v_cndmask_b32_e64 v43, v37, v39, s[48:49]                  // 000000004804: D100002B 00C24F25
	v_perm_b32 v170, v43, v42, s52                             // 00000000480C: D1ED00AA 00D2552B
	v_cmp_u_f32_e64 s[48:49], v174, v174                       // 000000004814: D0480030 00035DAE
	v_add3_u32 v37, v174, v40, 1                               // 00000000481C: D1FF0025 020651AE
	v_cndmask_b32_e64 v42, v37, v39, s[48:49]                  // 000000004824: D100002A 00C24F25
	v_cmp_u_f32_e64 s[48:49], v175, v175                       // 00000000482C: D0480030 00035FAF
	v_add3_u32 v37, v175, v40, 1                               // 000000004834: D1FF0025 020651AF
	v_cndmask_b32_e64 v43, v37, v39, s[48:49]                  // 00000000483C: D100002B 00C24F25
	v_perm_b32 v171, v43, v42, s52                             // 000000004844: D1ED00AB 00D2552B
	v_cmp_u_f32_e64 s[48:49], v176, v176                       // 00000000484C: D0480030 000361B0
	v_add3_u32 v37, v176, v40, 1                               // 000000004854: D1FF0025 020651B0
	v_cndmask_b32_e64 v42, v37, v39, s[48:49]                  // 00000000485C: D100002A 00C24F25
	v_cmp_u_f32_e64 s[48:49], v177, v177                       // 000000004864: D0480030 000363B1
	v_add3_u32 v37, v177, v40, 1                               // 00000000486C: D1FF0025 020651B1
	v_cndmask_b32_e64 v43, v37, v39, s[48:49]                  // 000000004874: D100002B 00C24F25
	v_perm_b32 v172, v43, v42, s52                             // 00000000487C: D1ED00AC 00D2552B
	v_cmp_u_f32_e64 s[48:49], v178, v178                       // 000000004884: D0480030 000365B2
	v_add3_u32 v37, v178, v40, 1                               // 00000000488C: D1FF0025 020651B2
	v_cndmask_b32_e64 v42, v37, v39, s[48:49]                  // 000000004894: D100002A 00C24F25
	v_cmp_u_f32_e64 s[48:49], v179, v179                       // 00000000489C: D0480030 000367B3
	v_add3_u32 v37, v179, v40, 1                               // 0000000048A4: D1FF0025 020651B3
	v_cndmask_b32_e64 v43, v37, v39, s[48:49]                  // 0000000048AC: D100002B 00C24F25
	v_perm_b32 v173, v43, v42, s52                             // 0000000048B4: D1ED00AD 00D2552B
	v_cmp_u_f32_e64 s[48:49], v180, v180                       // 0000000048BC: D0480030 000369B4
	v_add3_u32 v37, v180, v40, 1                               // 0000000048C4: D1FF0025 020651B4
	v_cndmask_b32_e64 v42, v37, v39, s[48:49]                  // 0000000048CC: D100002A 00C24F25
	v_cmp_u_f32_e64 s[48:49], v181, v181                       // 0000000048D4: D0480030 00036BB5
	v_add3_u32 v37, v181, v40, 1                               // 0000000048DC: D1FF0025 020651B5
	v_cndmask_b32_e64 v43, v37, v39, s[48:49]                  // 0000000048E4: D100002B 00C24F25
	v_perm_b32 v174, v43, v42, s52                             // 0000000048EC: D1ED00AE 00D2552B
	v_cmp_u_f32_e64 s[48:49], v182, v182                       // 0000000048F4: D0480030 00036DB6
	v_add3_u32 v37, v182, v40, 1                               // 0000000048FC: D1FF0025 020651B6
	v_cndmask_b32_e64 v42, v37, v39, s[48:49]                  // 000000004904: D100002A 00C24F25
	v_cmp_u_f32_e64 s[48:49], v183, v183                       // 00000000490C: D0480030 00036FB7
	v_add3_u32 v37, v183, v40, 1                               // 000000004914: D1FF0025 020651B7
	v_cndmask_b32_e64 v43, v37, v39, s[48:49]                  // 00000000491C: D100002B 00C24F25
	v_perm_b32 v175, v43, v42, s52                             // 000000004924: D1ED00AF 00D2552B
	v_cmp_u_f32_e64 s[48:49], v184, v184                       // 00000000492C: D0480030 000371B8
	v_add3_u32 v37, v184, v40, 1                               // 000000004934: D1FF0025 020651B8
	v_cndmask_b32_e64 v42, v37, v39, s[48:49]                  // 00000000493C: D100002A 00C24F25
	v_cmp_u_f32_e64 s[48:49], v185, v185                       // 000000004944: D0480030 000373B9
	v_add3_u32 v37, v185, v40, 1                               // 00000000494C: D1FF0025 020651B9
	v_cndmask_b32_e64 v43, v37, v39, s[48:49]                  // 000000004954: D100002B 00C24F25
	v_perm_b32 v176, v43, v42, s52                             // 00000000495C: D1ED00B0 00D2552B
	v_cmp_u_f32_e64 s[48:49], v186, v186                       // 000000004964: D0480030 000375BA
	v_add3_u32 v37, v186, v40, 1                               // 00000000496C: D1FF0025 020651BA
	v_cndmask_b32_e64 v42, v37, v39, s[48:49]                  // 000000004974: D100002A 00C24F25
	v_cmp_u_f32_e64 s[48:49], v187, v187                       // 00000000497C: D0480030 000377BB
	v_add3_u32 v37, v187, v40, 1                               // 000000004984: D1FF0025 020651BB
	v_cndmask_b32_e64 v43, v37, v39, s[48:49]                  // 00000000498C: D100002B 00C24F25
	v_perm_b32 v177, v43, v42, s52                             // 000000004994: D1ED00B1 00D2552B
	v_cmp_u_f32_e64 s[48:49], v188, v188                       // 00000000499C: D0480030 000379BC
	v_add3_u32 v37, v188, v40, 1                               // 0000000049A4: D1FF0025 020651BC
	v_cndmask_b32_e64 v42, v37, v39, s[48:49]                  // 0000000049AC: D100002A 00C24F25
	v_cmp_u_f32_e64 s[48:49], v189, v189                       // 0000000049B4: D0480030 00037BBD
	v_add3_u32 v37, v189, v40, 1                               // 0000000049BC: D1FF0025 020651BD
	v_cndmask_b32_e64 v43, v37, v39, s[48:49]                  // 0000000049C4: D100002B 00C24F25
	v_perm_b32 v178, v43, v42, s52                             // 0000000049CC: D1ED00B2 00D2552B
	v_cmp_u_f32_e64 s[48:49], v190, v190                       // 0000000049D4: D0480030 00037DBE
	v_add3_u32 v37, v190, v40, 1                               // 0000000049DC: D1FF0025 020651BE
	v_cndmask_b32_e64 v42, v37, v39, s[48:49]                  // 0000000049E4: D100002A 00C24F25
	v_cmp_u_f32_e64 s[48:49], v191, v191                       // 0000000049EC: D0480030 00037FBF
	v_add3_u32 v37, v191, v40, 1                               // 0000000049F4: D1FF0025 020651BF
	v_cndmask_b32_e64 v43, v37, v39, s[48:49]                  // 0000000049FC: D100002B 00C24F25
	v_perm_b32 v179, v43, v42, s52                             // 000000004A04: D1ED00B3 00D2552B
	v_cmp_u_f32_e64 s[48:49], v192, v192                       // 000000004A0C: D0480030 000381C0
	v_add3_u32 v37, v192, v40, 1                               // 000000004A14: D1FF0025 020651C0
	v_cndmask_b32_e64 v42, v37, v39, s[48:49]                  // 000000004A1C: D100002A 00C24F25
	v_cmp_u_f32_e64 s[48:49], v193, v193                       // 000000004A24: D0480030 000383C1
	v_add3_u32 v37, v193, v40, 1                               // 000000004A2C: D1FF0025 020651C1
	v_cndmask_b32_e64 v43, v37, v39, s[48:49]                  // 000000004A34: D100002B 00C24F25
	v_perm_b32 v180, v43, v42, s52                             // 000000004A3C: D1ED00B4 00D2552B
	v_cmp_u_f32_e64 s[48:49], v194, v194                       // 000000004A44: D0480030 000385C2
	v_add3_u32 v37, v194, v40, 1                               // 000000004A4C: D1FF0025 020651C2
	v_cndmask_b32_e64 v42, v37, v39, s[48:49]                  // 000000004A54: D100002A 00C24F25
	v_cmp_u_f32_e64 s[48:49], v195, v195                       // 000000004A5C: D0480030 000387C3
	v_add3_u32 v37, v195, v40, 1                               // 000000004A64: D1FF0025 020651C3
	v_cndmask_b32_e64 v43, v37, v39, s[48:49]                  // 000000004A6C: D100002B 00C24F25
	v_perm_b32 v181, v43, v42, s52                             // 000000004A74: D1ED00B5 00D2552B
	v_cmp_u_f32_e64 s[48:49], v196, v196                       // 000000004A7C: D0480030 000389C4
	v_add3_u32 v37, v196, v40, 1                               // 000000004A84: D1FF0025 020651C4
	v_cndmask_b32_e64 v42, v37, v39, s[48:49]                  // 000000004A8C: D100002A 00C24F25
	v_cmp_u_f32_e64 s[48:49], v197, v197                       // 000000004A94: D0480030 00038BC5
	v_add3_u32 v37, v197, v40, 1                               // 000000004A9C: D1FF0025 020651C5
	v_cndmask_b32_e64 v43, v37, v39, s[48:49]                  // 000000004AA4: D100002B 00C24F25
	v_perm_b32 v182, v43, v42, s52                             // 000000004AAC: D1ED00B6 00D2552B
	v_cmp_u_f32_e64 s[48:49], v198, v198                       // 000000004AB4: D0480030 00038DC6
	v_add3_u32 v37, v198, v40, 1                               // 000000004ABC: D1FF0025 020651C6
	v_cndmask_b32_e64 v42, v37, v39, s[48:49]                  // 000000004AC4: D100002A 00C24F25
	v_cmp_u_f32_e64 s[48:49], v199, v199                       // 000000004ACC: D0480030 00038FC7
	v_add3_u32 v37, v199, v40, 1                               // 000000004AD4: D1FF0025 020651C7
	v_cndmask_b32_e64 v43, v37, v39, s[48:49]                  // 000000004ADC: D100002B 00C24F25
	v_perm_b32 v183, v43, v42, s52                             // 000000004AE4: D1ED00B7 00D2552B
	ds_write_b64 v3, v[168:169] offset:20736                   // 000000004AEC: D89A5100 0000A803
	ds_write_b64 v3, v[170:171] offset:29440                   // 000000004AF4: D89A7300 0000AA03
	ds_write_b64 v3, v[172:173] offset:22912                   // 000000004AFC: D89A5980 0000AC03
	ds_write_b64 v3, v[174:175] offset:31616                   // 000000004B04: D89A7B80 0000AE03
	ds_write_b64 v3, v[176:177] offset:25088                   // 000000004B0C: D89A6200 0000B003
	ds_write_b64 v3, v[178:179] offset:33792                   // 000000004B14: D89A8400 0000B203
	ds_write_b64 v3, v[180:181] offset:27264                   // 000000004B1C: D89A6A80 0000B403
	ds_write_b64 v3, v[182:183] offset:35968                   // 000000004B24: D89A8C80 0000B603
	s_waitcnt lgkmcnt(0)                                       // 000000004B2C: BF8CC07F
	s_barrier                                                  // 000000004B30: BF8A0000
	ds_read_b32 v64, v4 offset:20736                           // 000000004B34: D86C5100 40000004
	ds_read_b32 v65, v4 offset:25088                           // 000000004B3C: D86C6200 41000004
	ds_read_b32 v66, v4 offset:20768                           // 000000004B44: D86C5120 42000004
	ds_read_b32 v67, v4 offset:25120                           // 000000004B4C: D86C6220 43000004
	ds_read_b32 v68, v4 offset:20800                           // 000000004B54: D86C5140 44000004
	ds_read_b32 v69, v4 offset:25152                           // 000000004B5C: D86C6240 45000004
	ds_read_b32 v70, v4 offset:20832                           // 000000004B64: D86C5160 46000004
	ds_read_b32 v71, v4 offset:25184                           // 000000004B6C: D86C6260 47000004
	ds_read_b32 v72, v4 offset:29440                           // 000000004B74: D86C7300 48000004
	ds_read_b32 v73, v4 offset:33792                           // 000000004B7C: D86C8400 49000004
	ds_read_b32 v74, v4 offset:29472                           // 000000004B84: D86C7320 4A000004
	ds_read_b32 v75, v4 offset:33824                           // 000000004B8C: D86C8420 4B000004
	ds_read_b32 v76, v4 offset:29504                           // 000000004B94: D86C7340 4C000004
	ds_read_b32 v77, v4 offset:33856                           // 000000004B9C: D86C8440 4D000004
	ds_read_b32 v78, v4 offset:29536                           // 000000004BA4: D86C7360 4E000004
	ds_read_b32 v79, v4 offset:33888                           // 000000004BAC: D86C8460 4F000004
	s_waitcnt lgkmcnt(0)                                       // 000000004BB4: BF8CC07F
	s_mov_b64 exec, s[20:21]                                   // 000000004BB8: BEFE0114
	global_atomic_pk_add_bf16 v80, v64, s[8:9]                 // 000000004BBC: DD488000 00084050
	s_mov_b64 exec, s[36:37]                                   // 000000004BC4: BEFE0124
	s_mov_b64 exec, s[20:21]                                   // 000000004BC8: BEFE0114
	global_atomic_pk_add_bf16 v80, v65, s[8:9] offset:256      // 000000004BCC: DD488100 00084150
	s_mov_b64 exec, s[36:37]                                   // 000000004BD4: BEFE0124
	s_mov_b64 exec, s[22:23]                                   // 000000004BD8: BEFE0116
	global_atomic_pk_add_bf16 v82, v66, s[8:9]                 // 000000004BDC: DD488000 00084252
	s_mov_b64 exec, s[36:37]                                   // 000000004BE4: BEFE0124
	s_mov_b64 exec, s[22:23]                                   // 000000004BE8: BEFE0116
	global_atomic_pk_add_bf16 v82, v67, s[8:9] offset:256      // 000000004BEC: DD488100 00084352
	s_mov_b64 exec, s[36:37]                                   // 000000004BF4: BEFE0124
	s_mov_b64 exec, s[24:25]                                   // 000000004BF8: BEFE0118
	global_atomic_pk_add_bf16 v84, v68, s[8:9]                 // 000000004BFC: DD488000 00084454
	s_mov_b64 exec, s[36:37]                                   // 000000004C04: BEFE0124
	s_mov_b64 exec, s[24:25]                                   // 000000004C08: BEFE0118
	global_atomic_pk_add_bf16 v84, v69, s[8:9] offset:256      // 000000004C0C: DD488100 00084554
	s_mov_b64 exec, s[36:37]                                   // 000000004C14: BEFE0124
	s_mov_b64 exec, s[26:27]                                   // 000000004C18: BEFE011A
	global_atomic_pk_add_bf16 v86, v70, s[8:9]                 // 000000004C1C: DD488000 00084656
	s_mov_b64 exec, s[36:37]                                   // 000000004C24: BEFE0124
	s_mov_b64 exec, s[26:27]                                   // 000000004C28: BEFE011A
	global_atomic_pk_add_bf16 v86, v71, s[8:9] offset:256      // 000000004C2C: DD488100 00084756
	s_mov_b64 exec, s[36:37]                                   // 000000004C34: BEFE0124
	s_mov_b64 exec, s[28:29]                                   // 000000004C38: BEFE011C
	global_atomic_pk_add_bf16 v88, v72, s[8:9]                 // 000000004C3C: DD488000 00084858
	s_mov_b64 exec, s[36:37]                                   // 000000004C44: BEFE0124
	s_mov_b64 exec, s[28:29]                                   // 000000004C48: BEFE011C
	global_atomic_pk_add_bf16 v88, v73, s[8:9] offset:256      // 000000004C4C: DD488100 00084958
	s_mov_b64 exec, s[36:37]                                   // 000000004C54: BEFE0124
	s_mov_b64 exec, s[30:31]                                   // 000000004C58: BEFE011E
	global_atomic_pk_add_bf16 v90, v74, s[8:9]                 // 000000004C5C: DD488000 00084A5A
	s_mov_b64 exec, s[36:37]                                   // 000000004C64: BEFE0124
	s_mov_b64 exec, s[30:31]                                   // 000000004C68: BEFE011E
	global_atomic_pk_add_bf16 v90, v75, s[8:9] offset:256      // 000000004C6C: DD488100 00084B5A
	s_mov_b64 exec, s[36:37]                                   // 000000004C74: BEFE0124
	s_mov_b64 exec, s[32:33]                                   // 000000004C78: BEFE0120
	global_atomic_pk_add_bf16 v92, v76, s[8:9]                 // 000000004C7C: DD488000 00084C5C
	s_mov_b64 exec, s[36:37]                                   // 000000004C84: BEFE0124
	s_mov_b64 exec, s[32:33]                                   // 000000004C88: BEFE0120
	global_atomic_pk_add_bf16 v92, v77, s[8:9] offset:256      // 000000004C8C: DD488100 00084D5C
	s_mov_b64 exec, s[36:37]                                   // 000000004C94: BEFE0124
	s_mov_b64 exec, s[34:35]                                   // 000000004C98: BEFE0122
	global_atomic_pk_add_bf16 v94, v78, s[8:9]                 // 000000004C9C: DD488000 00084E5E
	s_mov_b64 exec, s[36:37]                                   // 000000004CA4: BEFE0124
	s_mov_b64 exec, s[34:35]                                   // 000000004CA8: BEFE0122
	global_atomic_pk_add_bf16 v94, v79, s[8:9] offset:256      // 000000004CAC: DD488100 00084F5E
	s_mov_b64 exec, s[36:37]                                   // 000000004CB4: BEFE0124
	s_add_u32 s8, s59, s8                                      // 000000004CB8: 8008083B
	s_addc_u32 s9, 0, s9                                       // 000000004CBC: 82090980
	s_addk_i32 s80, 0x100                                      // 000000004CC0: B7500100
	s_cmp_lt_i32 s80, s81                                      // 000000004CC4: BF045150
	s_cbranch_scc0 label_0874                                  // 000000004CC8: BF840001
	s_branch label_0495                                        // 000000004CCC: BF82FC21

0000000000004cd0 <label_0874>:
	s_nop 0                                                    // 000000004CD0: BF800000
	s_nop 0                                                    // 000000004CD4: BF800000
	s_branch label_0EF4                                        // 000000004CD8: BF82067D

0000000000004cdc <label_0877>:
	s_waitcnt vmcnt(0) lgkmcnt(0)                              // 000000004CDC: BF8C0070
	s_barrier                                                  // 000000004CE0: BF8A0000
	v_mfma_f32_16x16x32_fp8_fp8 v[128:131], a[0:1], v[136:137], v[128:131]// 000000004CE4: D3F30080 0E031100
	buffer_load_dwordx4 a[16:19], v32, s[92:95], 0 offen       // 000000004CEC: E05C1000 80971020
	v_mfma_f32_16x16x32_fp8_fp8 v[128:131], a[2:3], v[138:139], v[128:131]// 000000004CF4: D3F30080 0E031502
	v_mfma_f32_16x16x32_fp8_fp8 v[128:131], a[4:5], v[140:141], v[128:131]// 000000004CFC: D3F30080 0E031904
	buffer_load_dword v24, s[20:23], 0 offen lds               // 000000004D04: E0511000 80050018
	s_add_u32 m0, 0x100, s51                                   // 000000004D0C: 807C33FF 00000100
	buffer_load_dword v25, s[20:23], 0 offen lds               // 000000004D14: E0511000 80050019
	s_add_u32 m0, 0x200, s51                                   // 000000004D1C: 807C33FF 00000200
	v_mfma_f32_16x16x32_fp8_fp8 v[128:131], a[6:7], v[142:143], v[128:131]// 000000004D24: D3F30080 0E031D06
	v_mfma_f32_16x16x32_fp8_fp8 v[128:131], a[8:9], v[144:145], v[128:131]// 000000004D2C: D3F30080 0E032108
	buffer_load_dwordx4 a[20:23], v32, s[92:95], 0 offen offset:1024// 000000004D34: E05C1400 80971420
	v_mfma_f32_16x16x32_fp8_fp8 v[128:131], a[10:11], v[146:147], v[128:131]// 000000004D3C: D3F30080 0E03250A
	v_mfma_f32_16x16x32_fp8_fp8 v[128:131], a[12:13], v[148:149], v[128:131]// 000000004D44: D3F30080 0E03290C
	buffer_load_dword v26, s[20:23], 0 offen lds               // 000000004D4C: E0511000 8005001A
	s_add_u32 m0, 0x300, s51                                   // 000000004D54: 807C33FF 00000300
	buffer_load_dword v27, s[20:23], 0 offen lds               // 000000004D5C: E0511000 8005001B
	s_add_u32 m0, 0x400, s51                                   // 000000004D64: 807C33FF 00000400
	v_mfma_f32_16x16x32_fp8_fp8 v[128:131], a[14:15], v[150:151], v[128:131]// 000000004D6C: D3F30080 0E032D0E
	v_mfma_f32_16x16x32_fp8_fp8 v[132:135], a[0:1], v[152:153], v[132:135]// 000000004D74: D3F30084 0E133100
	buffer_load_dwordx4 a[24:27], v32, s[92:95], 0 offen offset:2048// 000000004D7C: E05C1800 80971820
	v_mfma_f32_16x16x32_fp8_fp8 v[132:135], a[2:3], v[154:155], v[132:135]// 000000004D84: D3F30084 0E133502
	v_mfma_f32_16x16x32_fp8_fp8 v[132:135], a[4:5], v[156:157], v[132:135]// 000000004D8C: D3F30084 0E133904
	buffer_load_dword v28, s[20:23], 0 offen lds               // 000000004D94: E0511000 8005001C
	s_add_u32 m0, 0x500, s51                                   // 000000004D9C: 807C33FF 00000500
	buffer_load_dword v29, s[20:23], 0 offen lds               // 000000004DA4: E0511000 8005001D
	s_add_u32 m0, 0x600, s51                                   // 000000004DAC: 807C33FF 00000600
	v_mfma_f32_16x16x32_fp8_fp8 v[132:135], a[6:7], v[158:159], v[132:135]// 000000004DB4: D3F30084 0E133D06
	v_mfma_f32_16x16x32_fp8_fp8 v[132:135], a[8:9], v[160:161], v[132:135]// 000000004DBC: D3F30084 0E134108
	buffer_load_dwordx4 a[28:31], v32, s[92:95], 0 offen offset:3072// 000000004DC4: E05C1C00 80971C20
	v_mfma_f32_16x16x32_fp8_fp8 v[132:135], a[10:11], v[162:163], v[132:135]// 000000004DCC: D3F30084 0E13450A
	v_mfma_f32_16x16x32_fp8_fp8 v[132:135], a[12:13], v[164:165], v[132:135]// 000000004DD4: D3F30084 0E13490C
	buffer_load_dword v30, s[20:23], 0 offen lds               // 000000004DDC: E0511000 8005001E
	s_add_u32 m0, 0x700, s51                                   // 000000004DE4: 807C33FF 00000700
	buffer_load_dword v31, s[20:23], 0 offen lds               // 000000004DEC: E0511000 8005001F
	s_add_u32 m0, 0, s50                                       // 000000004DF4: 807C3280
	v_mfma_f32_16x16x32_fp8_fp8 v[132:135], a[14:15], v[166:167], v[132:135]// 000000004DF8: D3F30084 0E134D0E
	s_waitcnt vmcnt(0)                                         // 000000004E00: BF8C0F70
	s_barrier                                                  // 000000004E04: BF8A0000
	v_mfma_f32_16x16x32_fp8_fp8 v[64:67], a[16:17], v[136:137], v[64:67]// 000000004E08: D3F30040 0D031110
	buffer_load_dwordx4 a[0:3], v32, s[24:27], 0 offen         // 000000004E10: E05C1000 80860020
	v_mfma_f32_16x16x32_fp8_fp8 v[64:67], a[18:19], v[138:139], v[64:67]// 000000004E18: D3F30040 0D031512
	v_mfma_f32_16x16x32_fp8_fp8 v[64:67], a[20:21], v[140:141], v[64:67]// 000000004E20: D3F30040 0D031914
	ds_read_b128 v[168:171], v2 offset:8320                    // 000000004E28: D9FE2080 A8000002
	ds_read_b128 v[172:175], v2 offset:8384                    // 000000004E30: D9FE20C0 AC000002
	v_mfma_f32_16x16x32_fp8_fp8 v[64:67], a[22:23], v[142:143], v[64:67]// 000000004E38: D3F30040 0D031D16
	v_mfma_f32_16x16x32_fp8_fp8 v[64:67], a[24:25], v[144:145], v[64:67]// 000000004E40: D3F30040 0D032118
	buffer_load_dwordx4 a[4:7], v32, s[24:27], 0 offen offset:1024// 000000004E48: E05C1400 80860420
	v_mfma_f32_16x16x32_fp8_fp8 v[64:67], a[26:27], v[146:147], v[64:67]// 000000004E50: D3F30040 0D03251A
	v_mfma_f32_16x16x32_fp8_fp8 v[64:67], a[28:29], v[148:149], v[64:67]// 000000004E58: D3F30040 0D03291C
	ds_read_b128 v[176:179], v2 offset:8448                    // 000000004E60: D9FE2100 B0000002
	ds_read_b128 v[180:183], v2 offset:8512                    // 000000004E68: D9FE2140 B4000002
	v_mfma_f32_16x16x32_fp8_fp8 v[64:67], a[30:31], v[150:151], v[64:67]// 000000004E70: D3F30040 0D032D1E
	v_mfma_f32_16x16x32_fp8_fp8 v[68:71], a[16:17], v[152:153], v[68:71]// 000000004E78: D3F30044 0D133110
	buffer_load_dwordx4 a[8:11], v32, s[24:27], 0 offen offset:2048// 000000004E80: E05C1800 80860820
	v_mfma_f32_16x16x32_fp8_fp8 v[68:71], a[18:19], v[154:155], v[68:71]// 000000004E88: D3F30044 0D133512
	v_mfma_f32_16x16x32_fp8_fp8 v[68:71], a[20:21], v[156:157], v[68:71]// 000000004E90: D3F30044 0D133914
	ds_read_b128 v[184:187], v2 offset:9344                    // 000000004E98: D9FE2480 B8000002
	ds_read_b128 v[188:191], v2 offset:9408                    // 000000004EA0: D9FE24C0 BC000002
	v_mfma_f32_16x16x32_fp8_fp8 v[68:71], a[22:23], v[158:159], v[68:71]// 000000004EA8: D3F30044 0D133D16
	v_mfma_f32_16x16x32_fp8_fp8 v[68:71], a[24:25], v[160:161], v[68:71]// 000000004EB0: D3F30044 0D134118
	buffer_load_dwordx4 a[12:15], v32, s[24:27], 0 offen offset:3072// 000000004EB8: E05C1C00 80860C20
	v_mfma_f32_16x16x32_fp8_fp8 v[68:71], a[26:27], v[162:163], v[68:71]// 000000004EC0: D3F30044 0D13451A
	v_mfma_f32_16x16x32_fp8_fp8 v[68:71], a[28:29], v[164:165], v[68:71]// 000000004EC8: D3F30044 0D13491C
	ds_read_b128 v[192:195], v2 offset:9472                    // 000000004ED0: D9FE2500 C0000002
	ds_read_b128 v[196:199], v2 offset:9536                    // 000000004ED8: D9FE2540 C4000002
	v_mfma_f32_16x16x32_fp8_fp8 v[68:71], a[30:31], v[166:167], v[68:71]// 000000004EE0: D3F30044 0D134D1E
	s_add_u32 s60, 0x200, s80                                  // 000000004EE8: 803C50FF 00000200
	s_cmp_lt_u32 s60, s81                                      // 000000004EF0: BF0A513C
	s_cselect_b32 s57, s57, 0                                  // 000000004EF4: 85398039
	s_add_u32 s60, 0x200, s80                                  // 000000004EF8: 803C50FF 00000200
	s_cmp_lt_u32 s60, s81                                      // 000000004F00: BF0A513C
	s_cselect_b32 s58, s58, 0                                  // 000000004F04: 853A803A
	s_add_u32 s20, s57, s20                                    // 000000004F08: 80141439
	s_addc_u32 s21, 0, s21                                     // 000000004F0C: 82151580
	s_add_u32 s24, s58, s24                                    // 000000004F10: 8018183A
	s_addc_u32 s25, 0, s25                                     // 000000004F14: 82191980
	s_add_u32 s92, s90, s92                                    // 000000004F18: 805C5C5A
	s_addc_u32 s93, 0, s93                                     // 000000004F1C: 825D5D80
	s_addk_i32 s80, 0x100                                      // 000000004F20: B7500100
	s_cmp_lt_i32 s80, s81                                      // 000000004F24: BF045150
	s_cbranch_scc0 label_09A0                                  // 000000004F28: BF840095
	s_waitcnt vmcnt(0) lgkmcnt(0)                              // 000000004F2C: BF8C0070
	s_barrier                                                  // 000000004F30: BF8A0000
	v_mfma_f32_16x16x32_fp8_fp8 v[128:131], a[0:1], v[168:169], v[128:131]// 000000004F34: D3F30080 0E035100
	buffer_load_dwordx4 a[16:19], v32, s[92:95], 0 offen       // 000000004F3C: E05C1000 80971020
	v_mfma_f32_16x16x32_fp8_fp8 v[128:131], a[2:3], v[170:171], v[128:131]// 000000004F44: D3F30080 0E035502
	v_mfma_f32_16x16x32_fp8_fp8 v[128:131], a[4:5], v[172:173], v[128:131]// 000000004F4C: D3F30080 0E035904
	buffer_load_dword v24, s[20:23], 0 offen lds               // 000000004F54: E0511000 80050018
	s_add_u32 m0, 0x100, s50                                   // 000000004F5C: 807C32FF 00000100
	buffer_load_dword v25, s[20:23], 0 offen lds               // 000000004F64: E0511000 80050019
	s_add_u32 m0, 0x200, s50                                   // 000000004F6C: 807C32FF 00000200
	v_mfma_f32_16x16x32_fp8_fp8 v[128:131], a[6:7], v[174:175], v[128:131]// 000000004F74: D3F30080 0E035D06
	v_mfma_f32_16x16x32_fp8_fp8 v[128:131], a[8:9], v[176:177], v[128:131]// 000000004F7C: D3F30080 0E036108
	buffer_load_dwordx4 a[20:23], v32, s[92:95], 0 offen offset:1024// 000000004F84: E05C1400 80971420
	v_mfma_f32_16x16x32_fp8_fp8 v[128:131], a[10:11], v[178:179], v[128:131]// 000000004F8C: D3F30080 0E03650A
	v_mfma_f32_16x16x32_fp8_fp8 v[128:131], a[12:13], v[180:181], v[128:131]// 000000004F94: D3F30080 0E03690C
	buffer_load_dword v26, s[20:23], 0 offen lds               // 000000004F9C: E0511000 8005001A
	s_add_u32 m0, 0x300, s50                                   // 000000004FA4: 807C32FF 00000300
	buffer_load_dword v27, s[20:23], 0 offen lds               // 000000004FAC: E0511000 8005001B
	s_add_u32 m0, 0x400, s50                                   // 000000004FB4: 807C32FF 00000400
	v_mfma_f32_16x16x32_fp8_fp8 v[128:131], a[14:15], v[182:183], v[128:131]// 000000004FBC: D3F30080 0E036D0E
	v_mfma_f32_16x16x32_fp8_fp8 v[132:135], a[0:1], v[184:185], v[132:135]// 000000004FC4: D3F30084 0E137100
	buffer_load_dwordx4 a[24:27], v32, s[92:95], 0 offen offset:2048// 000000004FCC: E05C1800 80971820
	v_mfma_f32_16x16x32_fp8_fp8 v[132:135], a[2:3], v[186:187], v[132:135]// 000000004FD4: D3F30084 0E137502
	v_mfma_f32_16x16x32_fp8_fp8 v[132:135], a[4:5], v[188:189], v[132:135]// 000000004FDC: D3F30084 0E137904
	buffer_load_dword v28, s[20:23], 0 offen lds               // 000000004FE4: E0511000 8005001C
	s_add_u32 m0, 0x500, s50                                   // 000000004FEC: 807C32FF 00000500
	buffer_load_dword v29, s[20:23], 0 offen lds               // 000000004FF4: E0511000 8005001D
	s_add_u32 m0, 0x600, s50                                   // 000000004FFC: 807C32FF 00000600
	v_mfma_f32_16x16x32_fp8_fp8 v[132:135], a[6:7], v[190:191], v[132:135]// 000000005004: D3F30084 0E137D06
	v_mfma_f32_16x16x32_fp8_fp8 v[132:135], a[8:9], v[192:193], v[132:135]// 00000000500C: D3F30084 0E138108
	buffer_load_dwordx4 a[28:31], v32, s[92:95], 0 offen offset:3072// 000000005014: E05C1C00 80971C20
	v_mfma_f32_16x16x32_fp8_fp8 v[132:135], a[10:11], v[194:195], v[132:135]// 00000000501C: D3F30084 0E13850A
	v_mfma_f32_16x16x32_fp8_fp8 v[132:135], a[12:13], v[196:197], v[132:135]// 000000005024: D3F30084 0E13890C
	buffer_load_dword v30, s[20:23], 0 offen lds               // 00000000502C: E0511000 8005001E
	s_add_u32 m0, 0x700, s50                                   // 000000005034: 807C32FF 00000700
	buffer_load_dword v31, s[20:23], 0 offen lds               // 00000000503C: E0511000 8005001F
	s_add_u32 m0, 0, s51                                       // 000000005044: 807C3380
	v_mfma_f32_16x16x32_fp8_fp8 v[132:135], a[14:15], v[198:199], v[132:135]// 000000005048: D3F30084 0E138D0E
	s_waitcnt vmcnt(0)                                         // 000000005050: BF8C0F70
	s_barrier                                                  // 000000005054: BF8A0000
	v_mfma_f32_16x16x32_fp8_fp8 v[64:67], a[16:17], v[168:169], v[64:67]// 000000005058: D3F30040 0D035110
	buffer_load_dwordx4 a[0:3], v32, s[24:27], 0 offen         // 000000005060: E05C1000 80860020
	v_mfma_f32_16x16x32_fp8_fp8 v[64:67], a[18:19], v[170:171], v[64:67]// 000000005068: D3F30040 0D035512
	v_mfma_f32_16x16x32_fp8_fp8 v[64:67], a[20:21], v[172:173], v[64:67]// 000000005070: D3F30040 0D035914
	ds_read_b128 v[136:139], v2                                // 000000005078: D9FE0000 88000002
	ds_read_b128 v[140:143], v2 offset:64                      // 000000005080: D9FE0040 8C000002
	v_mfma_f32_16x16x32_fp8_fp8 v[64:67], a[22:23], v[174:175], v[64:67]// 000000005088: D3F30040 0D035D16
	v_mfma_f32_16x16x32_fp8_fp8 v[64:67], a[24:25], v[176:177], v[64:67]// 000000005090: D3F30040 0D036118
	buffer_load_dwordx4 a[4:7], v32, s[24:27], 0 offen offset:1024// 000000005098: E05C1400 80860420
	v_mfma_f32_16x16x32_fp8_fp8 v[64:67], a[26:27], v[178:179], v[64:67]// 0000000050A0: D3F30040 0D03651A
	v_mfma_f32_16x16x32_fp8_fp8 v[64:67], a[28:29], v[180:181], v[64:67]// 0000000050A8: D3F30040 0D03691C
	ds_read_b128 v[144:147], v2 offset:128                     // 0000000050B0: D9FE0080 90000002
	ds_read_b128 v[148:151], v2 offset:192                     // 0000000050B8: D9FE00C0 94000002
	v_mfma_f32_16x16x32_fp8_fp8 v[64:67], a[30:31], v[182:183], v[64:67]// 0000000050C0: D3F30040 0D036D1E
	v_mfma_f32_16x16x32_fp8_fp8 v[68:71], a[16:17], v[184:185], v[68:71]// 0000000050C8: D3F30044 0D137110
	buffer_load_dwordx4 a[8:11], v32, s[24:27], 0 offen offset:2048// 0000000050D0: E05C1800 80860820
	v_mfma_f32_16x16x32_fp8_fp8 v[68:71], a[18:19], v[186:187], v[68:71]// 0000000050D8: D3F30044 0D137512
	v_mfma_f32_16x16x32_fp8_fp8 v[68:71], a[20:21], v[188:189], v[68:71]// 0000000050E0: D3F30044 0D137914
	ds_read_b128 v[152:155], v2 offset:1024                    // 0000000050E8: D9FE0400 98000002
	ds_read_b128 v[156:159], v2 offset:1088                    // 0000000050F0: D9FE0440 9C000002
	v_mfma_f32_16x16x32_fp8_fp8 v[68:71], a[22:23], v[190:191], v[68:71]// 0000000050F8: D3F30044 0D137D16
	v_mfma_f32_16x16x32_fp8_fp8 v[68:71], a[24:25], v[192:193], v[68:71]// 000000005100: D3F30044 0D138118
	buffer_load_dwordx4 a[12:15], v32, s[24:27], 0 offen offset:3072// 000000005108: E05C1C00 80860C20
	v_mfma_f32_16x16x32_fp8_fp8 v[68:71], a[26:27], v[194:195], v[68:71]// 000000005110: D3F30044 0D13851A
	v_mfma_f32_16x16x32_fp8_fp8 v[68:71], a[28:29], v[196:197], v[68:71]// 000000005118: D3F30044 0D13891C
	ds_read_b128 v[160:163], v2 offset:1152                    // 000000005120: D9FE0480 A0000002
	ds_read_b128 v[164:167], v2 offset:1216                    // 000000005128: D9FE04C0 A4000002
	v_mfma_f32_16x16x32_fp8_fp8 v[68:71], a[30:31], v[198:199], v[68:71]// 000000005130: D3F30044 0D138D1E
	s_add_u32 s60, 0x200, s80                                  // 000000005138: 803C50FF 00000200
	s_cmp_lt_u32 s60, s81                                      // 000000005140: BF0A513C
	s_cselect_b32 s57, s57, 0                                  // 000000005144: 85398039
	s_add_u32 s60, 0x200, s80                                  // 000000005148: 803C50FF 00000200
	s_cmp_lt_u32 s60, s81                                      // 000000005150: BF0A513C
	s_cselect_b32 s58, s58, 0                                  // 000000005154: 853A803A
	s_add_u32 s20, s57, s20                                    // 000000005158: 80141439
	s_addc_u32 s21, 0, s21                                     // 00000000515C: 82151580
	s_add_u32 s24, s58, s24                                    // 000000005160: 8018183A
	s_addc_u32 s25, 0, s25                                     // 000000005164: 82191980
	s_add_u32 s92, s90, s92                                    // 000000005168: 805C5C5A
	s_addc_u32 s93, 0, s93                                     // 00000000516C: 825D5D80
	s_addk_i32 s80, 0x100                                      // 000000005170: B7500100
	s_cmp_lt_i32 s80, s81                                      // 000000005174: BF045150
	s_cbranch_scc0 label_09A0                                  // 000000005178: BF840001
	s_branch label_0877                                        // 00000000517C: BF82FED7

0000000000005180 <label_09A0>:
	s_mov_b32 s36, -1                                          // 000000005180: BEA400C1
	s_mov_b32 s37, -1                                          // 000000005184: BEA500C1
	s_mov_b64 s[60:61], 0                                      // 000000005188: BEBC0180
	s_cmp_lt_u32 s82, s66                                      // 00000000518C: BF0A4252
	s_cselect_b64 s[20:21], s[36:37], s[60:61]                 // 000000005190: 85943C24
	s_cmp_lt_u32 s83, s66                                      // 000000005194: BF0A4253
	s_cselect_b64 s[22:23], s[36:37], s[60:61]                 // 000000005198: 85963C24
	s_cmp_lt_u32 s84, s66                                      // 00000000519C: BF0A4254
	s_cselect_b64 s[24:25], s[36:37], s[60:61]                 // 0000000051A0: 85983C24
	s_cmp_lt_u32 s85, s66                                      // 0000000051A4: BF0A4255
	s_cselect_b64 s[26:27], s[36:37], s[60:61]                 // 0000000051A8: 859A3C24
	s_cmp_lt_u32 s86, s66                                      // 0000000051AC: BF0A4256
	s_cselect_b64 s[28:29], s[36:37], s[60:61]                 // 0000000051B0: 859C3C24
	s_cmp_lt_u32 s87, s66                                      // 0000000051B4: BF0A4257
	s_cselect_b64 s[30:31], s[36:37], s[60:61]                 // 0000000051B8: 859E3C24
	s_cmp_lt_u32 s88, s66                                      // 0000000051BC: BF0A4258
	s_cselect_b64 s[32:33], s[36:37], s[60:61]                 // 0000000051C0: 85A03C24
	s_cmp_lt_u32 s89, s66                                      // 0000000051C4: BF0A4259
	s_cselect_b64 s[34:35], s[36:37], s[60:61]                 // 0000000051C8: 85A23C24
	v_mul_f32_e32 v128, v13, v128                              // 0000000051CC: 0B01010D
	v_mul_f32_e32 v128, v17, v128                              // 0000000051D0: 0B010111
	v_mul_f32_e32 v129, v13, v129                              // 0000000051D4: 0B03030D
	v_mul_f32_e32 v129, v17, v129                              // 0000000051D8: 0B030311
	v_mul_f32_e32 v130, v13, v130                              // 0000000051DC: 0B05050D
	v_mul_f32_e32 v130, v17, v130                              // 0000000051E0: 0B050511
	v_mul_f32_e32 v131, v13, v131                              // 0000000051E4: 0B07070D
	v_mul_f32_e32 v131, v17, v131                              // 0000000051E8: 0B070711
	v_mul_f32_dpp v128, v15, v128 row_newbcast:0 row_mask:0xf bank_mask:0xf// 0000000051EC: 0B0100FA FF01500F
	v_mul_f32_dpp v129, v15, v129 row_newbcast:1 row_mask:0xf bank_mask:0xf// 0000000051F4: 0B0302FA FF01510F
	v_mul_f32_dpp v130, v15, v130 row_newbcast:2 row_mask:0xf bank_mask:0xf// 0000000051FC: 0B0504FA FF01520F
	v_mul_f32_dpp v131, v15, v131 row_newbcast:3 row_mask:0xf bank_mask:0xf// 000000005204: 0B0706FA FF01530F
	v_mul_f32_e32 v132, v14, v132                              // 00000000520C: 0B09090E
	v_mul_f32_e32 v132, v18, v132                              // 000000005210: 0B090912
	v_mul_f32_e32 v133, v14, v133                              // 000000005214: 0B0B0B0E
	v_mul_f32_e32 v133, v18, v133                              // 000000005218: 0B0B0B12
	v_mul_f32_e32 v134, v14, v134                              // 00000000521C: 0B0D0D0E
	v_mul_f32_e32 v134, v18, v134                              // 000000005220: 0B0D0D12
	v_mul_f32_e32 v135, v14, v135                              // 000000005224: 0B0F0F0E
	v_mul_f32_e32 v135, v18, v135                              // 000000005228: 0B0F0F12
	v_mul_f32_dpp v132, v15, v132 row_newbcast:0 row_mask:0xf bank_mask:0xf// 00000000522C: 0B0908FA FF01500F
	v_mul_f32_dpp v133, v15, v133 row_newbcast:1 row_mask:0xf bank_mask:0xf// 000000005234: 0B0B0AFA FF01510F
	v_mul_f32_dpp v134, v15, v134 row_newbcast:2 row_mask:0xf bank_mask:0xf// 00000000523C: 0B0D0CFA FF01520F
	v_mul_f32_dpp v135, v15, v135 row_newbcast:3 row_mask:0xf bank_mask:0xf// 000000005244: 0B0F0EFA FF01530F
	v_mul_f32_e32 v64, v13, v64                                // 00000000524C: 0A80810D
	v_mul_f32_e32 v64, v17, v64                                // 000000005250: 0A808111
	v_mul_f32_e32 v65, v13, v65                                // 000000005254: 0A82830D
	v_mul_f32_e32 v65, v17, v65                                // 000000005258: 0A828311
	v_mul_f32_e32 v66, v13, v66                                // 00000000525C: 0A84850D
	v_mul_f32_e32 v66, v17, v66                                // 000000005260: 0A848511
	v_mul_f32_e32 v67, v13, v67                                // 000000005264: 0A86870D
	v_mul_f32_e32 v67, v17, v67                                // 000000005268: 0A868711
	v_mul_f32_dpp v64, v41, v64 row_newbcast:0 row_mask:0xf bank_mask:0xf// 00000000526C: 0A8080FA FF015029
	v_mul_f32_dpp v65, v41, v65 row_newbcast:1 row_mask:0xf bank_mask:0xf// 000000005274: 0A8282FA FF015129
	v_mul_f32_dpp v66, v41, v66 row_newbcast:2 row_mask:0xf bank_mask:0xf// 00000000527C: 0A8484FA FF015229
	v_mul_f32_dpp v67, v41, v67 row_newbcast:3 row_mask:0xf bank_mask:0xf// 000000005284: 0A8686FA FF015329
	v_mul_f32_e32 v68, v14, v68                                // 00000000528C: 0A88890E
	v_mul_f32_e32 v68, v18, v68                                // 000000005290: 0A888912
	v_mul_f32_e32 v69, v14, v69                                // 000000005294: 0A8A8B0E
	v_mul_f32_e32 v69, v18, v69                                // 000000005298: 0A8A8B12
	v_mul_f32_e32 v70, v14, v70                                // 00000000529C: 0A8C8D0E
	v_mul_f32_e32 v70, v18, v70                                // 0000000052A0: 0A8C8D12
	v_mul_f32_e32 v71, v14, v71                                // 0000000052A4: 0A8E8F0E
	v_mul_f32_e32 v71, v18, v71                                // 0000000052A8: 0A8E8F12
	v_mul_f32_dpp v68, v41, v68 row_newbcast:0 row_mask:0xf bank_mask:0xf// 0000000052AC: 0A8888FA FF015029
	v_mul_f32_dpp v69, v41, v69 row_newbcast:1 row_mask:0xf bank_mask:0xf// 0000000052B4: 0A8A8AFA FF015129
	v_mul_f32_dpp v70, v41, v70 row_newbcast:2 row_mask:0xf bank_mask:0xf// 0000000052BC: 0A8C8CFA FF015229
	v_mul_f32_dpp v71, v41, v71 row_newbcast:3 row_mask:0xf bank_mask:0xf// 0000000052C4: 0A8E8EFA FF015329
	s_waitcnt vmcnt(0)                                         // 0000000052CC: BF8C0F70
	buffer_load_dwordx4 a[0:3], v33, s[12:15], 0 offen         // 0000000052D0: E05C1000 80830021
	v_mul_f32_e32 v42, v128, v128                              // 0000000052D8: 0A550180
	v_mul_f32_e32 v43, v129, v129                              // 0000000052DC: 0A570381
	v_mul_f32_e32 v44, v130, v130                              // 0000000052E0: 0A590582
	v_mul_f32_e32 v45, v131, v131                              // 0000000052E4: 0A5B0783
	v_fma_f32 v42, v42, s77, v1                                // 0000000052E8: D1CB002A 04049B2A
	v_fma_f32 v43, v43, s77, v1                                // 0000000052F0: D1CB002B 04049B2B
	v_fma_f32 v44, v44, s77, v1                                // 0000000052F8: D1CB002C 04049B2C
	v_fma_f32 v45, v45, s77, v1                                // 000000005300: D1CB002D 04049B2D
	v_mul_f32_e32 v42, v42, v128                               // 000000005308: 0A55012A
	v_mul_f32_e32 v43, v43, v129                               // 00000000530C: 0A57032B
	v_mul_f32_e32 v44, v44, v130                               // 000000005310: 0A59052C
	v_mul_f32_e32 v45, v45, v131                               // 000000005314: 0A5B072D
	v_mul_f32_e64 v42, v42, s6                                 // 000000005318: D105002A 00000D2A
	v_mul_f32_e64 v43, v43, s6                                 // 000000005320: D105002B 00000D2B
	v_mul_f32_e64 v44, v44, s6                                 // 000000005328: D105002C 00000D2C
	v_mul_f32_e64 v45, v45, s6                                 // 000000005330: D105002D 00000D2D
	v_exp_f32_e32 v42, v42                                     // 000000005338: 7E54412A
	v_exp_f32_e32 v43, v43                                     // 00000000533C: 7E56412B
	v_exp_f32_e32 v44, v44                                     // 000000005340: 7E58412C
	v_exp_f32_e32 v45, v45                                     // 000000005344: 7E5A412D
	buffer_load_dwordx4 a[4:7], v34, s[12:15], 0 offen         // 000000005348: E05C1000 80830422
	v_add_f32_e64 v42, v42, 1.0                                // 000000005350: D101002A 0001E52A
	v_add_f32_e64 v43, v43, 1.0                                // 000000005358: D101002B 0001E52B
	v_add_f32_e64 v44, v44, 1.0                                // 000000005360: D101002C 0001E52C
	v_add_f32_e64 v45, v45, 1.0                                // 000000005368: D101002D 0001E52D
	v_rcp_f32_e32 v42, v42                                     // 000000005370: 7E54452A
	v_rcp_f32_e32 v43, v43                                     // 000000005374: 7E56452B
	v_rcp_f32_e32 v44, v44                                     // 000000005378: 7E58452C
	v_rcp_f32_e32 v45, v45                                     // 00000000537C: 7E5A452D
	v_mul_f32_e32 v128, v128, v42                              // 000000005380: 0B005580
	v_mul_f32_e32 v129, v129, v43                              // 000000005384: 0B025781
	v_mul_f32_e32 v130, v130, v44                              // 000000005388: 0B045982
	v_mul_f32_e32 v131, v131, v45                              // 00000000538C: 0B065B83
	v_mul_f32_e32 v128, v128, v64                              // 000000005390: 0B008180
	v_mul_f32_e32 v129, v129, v65                              // 000000005394: 0B028381
	v_mul_f32_e32 v130, v130, v66                              // 000000005398: 0B048582
	v_mul_f32_e32 v131, v131, v67                              // 00000000539C: 0B068783
	buffer_load_dwordx4 a[8:11], v35, s[12:15], 0 offen        // 0000000053A0: E05C1000 80830823
	v_mul_f32_e32 v42, v132, v132                              // 0000000053A8: 0A550984
	v_mul_f32_e32 v43, v133, v133                              // 0000000053AC: 0A570B85
	v_mul_f32_e32 v44, v134, v134                              // 0000000053B0: 0A590D86
	v_mul_f32_e32 v45, v135, v135                              // 0000000053B4: 0A5B0F87
	v_fma_f32 v42, v42, s77, v1                                // 0000000053B8: D1CB002A 04049B2A
	v_fma_f32 v43, v43, s77, v1                                // 0000000053C0: D1CB002B 04049B2B
	v_fma_f32 v44, v44, s77, v1                                // 0000000053C8: D1CB002C 04049B2C
	v_fma_f32 v45, v45, s77, v1                                // 0000000053D0: D1CB002D 04049B2D
	v_mul_f32_e32 v42, v42, v132                               // 0000000053D8: 0A55092A
	v_mul_f32_e32 v43, v43, v133                               // 0000000053DC: 0A570B2B
	v_mul_f32_e32 v44, v44, v134                               // 0000000053E0: 0A590D2C
	v_mul_f32_e32 v45, v45, v135                               // 0000000053E4: 0A5B0F2D
	v_mul_f32_e64 v42, v42, s6                                 // 0000000053E8: D105002A 00000D2A
	v_mul_f32_e64 v43, v43, s6                                 // 0000000053F0: D105002B 00000D2B
	v_mul_f32_e64 v44, v44, s6                                 // 0000000053F8: D105002C 00000D2C
	v_mul_f32_e64 v45, v45, s6                                 // 000000005400: D105002D 00000D2D
	v_exp_f32_e32 v42, v42                                     // 000000005408: 7E54412A
	v_exp_f32_e32 v43, v43                                     // 00000000540C: 7E56412B
	v_exp_f32_e32 v44, v44                                     // 000000005410: 7E58412C
	v_exp_f32_e32 v45, v45                                     // 000000005414: 7E5A412D
	buffer_load_dwordx4 a[12:15], v36, s[12:15], 0 offen       // 000000005418: E05C1000 80830C24
	v_add_f32_e64 v42, v42, 1.0                                // 000000005420: D101002A 0001E52A
	v_add_f32_e64 v43, v43, 1.0                                // 000000005428: D101002B 0001E52B
	v_add_f32_e64 v44, v44, 1.0                                // 000000005430: D101002C 0001E52C
	v_add_f32_e64 v45, v45, 1.0                                // 000000005438: D101002D 0001E52D
	v_rcp_f32_e32 v42, v42                                     // 000000005440: 7E54452A
	v_rcp_f32_e32 v43, v43                                     // 000000005444: 7E56452B
	v_rcp_f32_e32 v44, v44                                     // 000000005448: 7E58452C
	v_rcp_f32_e32 v45, v45                                     // 00000000544C: 7E5A452D
	v_mul_f32_e32 v132, v132, v42                              // 000000005450: 0B085584
	v_mul_f32_e32 v133, v133, v43                              // 000000005454: 0B0A5785
	v_mul_f32_e32 v134, v134, v44                              // 000000005458: 0B0C5986
	v_mul_f32_e32 v135, v135, v45                              // 00000000545C: 0B0E5B87
	v_mul_f32_e32 v132, v132, v68                              // 000000005460: 0B088984
	v_mul_f32_e32 v133, v133, v69                              // 000000005464: 0B0A8B85
	v_mul_f32_e32 v134, v134, v70                              // 000000005468: 0B0C8D86
	v_mul_f32_e32 v135, v135, v71                              // 00000000546C: 0B0E8F87
	v_lshlrev_b32_e32 v42, 2, v0                               // 000000005470: 24540082
	s_mul_i32 s60, s82, s71                                    // 000000005474: 923C4752
	v_add_u32_e64 v80, v42, s60                                // 000000005478: D1340050 0000792A
	v_mov_b32_e32 v81, 0                                       // 000000005480: 7EA20280
	s_mul_i32 s60, s83, s71                                    // 000000005484: 923C4753
	v_add_u32_e64 v82, v42, s60                                // 000000005488: D1340052 0000792A
	v_mov_b32_e32 v83, 0                                       // 000000005490: 7EA60280
	s_mul_i32 s60, s84, s71                                    // 000000005494: 923C4754
	v_add_u32_e64 v84, v42, s60                                // 000000005498: D1340054 0000792A
	v_mov_b32_e32 v85, 0                                       // 0000000054A0: 7EAA0280
	s_mul_i32 s60, s85, s71                                    // 0000000054A4: 923C4755
	v_add_u32_e64 v86, v42, s60                                // 0000000054A8: D1340056 0000792A
	v_mov_b32_e32 v87, 0                                       // 0000000054B0: 7EAE0280
	s_mul_i32 s60, s86, s71                                    // 0000000054B4: 923C4756
	v_add_u32_e64 v88, v42, s60                                // 0000000054B8: D1340058 0000792A
	v_mov_b32_e32 v89, 0                                       // 0000000054C0: 7EB20280
	s_mul_i32 s60, s87, s71                                    // 0000000054C4: 923C4757
	v_add_u32_e64 v90, v42, s60                                // 0000000054C8: D134005A 0000792A
	v_mov_b32_e32 v91, 0                                       // 0000000054D0: 7EB60280
	s_mul_i32 s60, s88, s71                                    // 0000000054D4: 923C4758
	v_add_u32_e64 v92, v42, s60                                // 0000000054D8: D134005C 0000792A
	v_mov_b32_e32 v93, 0                                       // 0000000054E0: 7EBA0280
	s_mul_i32 s60, s89, s71                                    // 0000000054E4: 923C4759
	v_add_u32_e64 v94, v42, s60                                // 0000000054E8: D134005E 0000792A
	v_mov_b32_e32 v95, 0                                       // 0000000054F0: 7EBE0280
	buffer_load_dword v11, v5, s[16:19], 0 offen               // 0000000054F4: E0501000 80040B05
	v_mov_b32_e32 v20, 0x358637bd                              // 0000000054FC: 7E2802FF 358637BD
	v_mov_b32_e32 v21, 0x358637bd                              // 000000005504: 7E2A02FF 358637BD
	v_max3_f32 v20, |v128|, |v129|, v20                        // 00000000550C: D1D30314 04530380
	v_max3_f32 v20, |v130|, |v131|, v20                        // 000000005514: D1D30314 04530782
	v_max3_f32 v21, |v132|, |v133|, v21                        // 00000000551C: D1D30315 04570B84
	v_max3_f32 v21, |v134|, |v135|, v21                        // 000000005524: D1D30315 04570F86
	v_lshlrev_b32_e32 v42, 3, v0                               // 00000000552C: 24540083
	s_mul_i32 s60, 0x200, s7                                   // 000000005530: 923C07FF 00000200
	v_add_u32_e32 v42, s60, v42                                // 000000005538: 6854543C
	ds_write_b64 v42, v[20:21] offset:16640                    // 00000000553C: D89A4100 0000142A
	s_waitcnt lgkmcnt(0)                                       // 000000005544: BF8CC07F
	s_barrier                                                  // 000000005548: BF8A0000
	v_and_b32_e32 v42, 15, v0                                  // 00000000554C: 2654008F
	v_lshlrev_b32_e32 v42, 3, v42                              // 000000005550: 24545483
	ds_read_b64 v[96:97], v42 offset:16640                     // 000000005554: D8EC4100 6000002A
	ds_read_b64 v[98:99], v42 offset:16768                     // 00000000555C: D8EC4180 6200002A
	ds_read_b64 v[100:101], v42 offset:16896                   // 000000005564: D8EC4200 6400002A
	ds_read_b64 v[102:103], v42 offset:17024                   // 00000000556C: D8EC4280 6600002A
	ds_read_b64 v[104:105], v42 offset:17152                   // 000000005574: D8EC4300 6800002A
	ds_read_b64 v[106:107], v42 offset:17280                   // 00000000557C: D8EC4380 6A00002A
	ds_read_b64 v[108:109], v42 offset:17408                   // 000000005584: D8EC4400 6C00002A
	ds_read_b64 v[110:111], v42 offset:17536                   // 00000000558C: D8EC4480 6E00002A
	ds_read_b64 v[112:113], v42 offset:17664                   // 000000005594: D8EC4500 7000002A
	ds_read_b64 v[114:115], v42 offset:17792                   // 00000000559C: D8EC4580 7200002A
	ds_read_b64 v[116:117], v42 offset:17920                   // 0000000055A4: D8EC4600 7400002A
	ds_read_b64 v[118:119], v42 offset:18048                   // 0000000055AC: D8EC4680 7600002A
	ds_read_b64 v[120:121], v42 offset:18176                   // 0000000055B4: D8EC4700 7800002A
	ds_read_b64 v[122:123], v42 offset:18304                   // 0000000055BC: D8EC4780 7A00002A
	ds_read_b64 v[124:125], v42 offset:18432                   // 0000000055C4: D8EC4800 7C00002A
	ds_read_b64 v[126:127], v42 offset:18560                   // 0000000055CC: D8EC4880 7E00002A
	s_waitcnt lgkmcnt(0)                                       // 0000000055D4: BF8CC07F
	v_max3_f32 v20, |v96|, |v98|, v20                          // 0000000055D8: D1D30314 0452C560
	v_max3_f32 v21, |v97|, |v99|, v21                          // 0000000055E0: D1D30315 0456C761
	v_max3_f32 v20, |v100|, |v102|, v20                        // 0000000055E8: D1D30314 0452CD64
	v_max3_f32 v21, |v101|, |v103|, v21                        // 0000000055F0: D1D30315 0456CF65
	v_max3_f32 v20, |v104|, |v106|, v20                        // 0000000055F8: D1D30314 0452D568
	v_max3_f32 v21, |v105|, |v107|, v21                        // 000000005600: D1D30315 0456D769
	v_max3_f32 v20, |v108|, |v110|, v20                        // 000000005608: D1D30314 0452DD6C
	v_max3_f32 v21, |v109|, |v111|, v21                        // 000000005610: D1D30315 0456DF6D
	v_max3_f32 v20, |v112|, |v114|, v20                        // 000000005618: D1D30314 0452E570
	v_max3_f32 v21, |v113|, |v115|, v21                        // 000000005620: D1D30315 0456E771
	v_max3_f32 v20, |v116|, |v118|, v20                        // 000000005628: D1D30314 0452ED74
	v_max3_f32 v21, |v117|, |v119|, v21                        // 000000005630: D1D30315 0456EF75
	v_max3_f32 v20, |v120|, |v122|, v20                        // 000000005638: D1D30314 0452F578
	v_max3_f32 v21, |v121|, |v123|, v21                        // 000000005640: D1D30315 0456F779
	v_max3_f32 v20, |v124|, |v126|, v20                        // 000000005648: D1D30314 0452FD7C
	v_max3_f32 v21, |v125|, |v127|, v21                        // 000000005650: D1D30315 0456FF7D
	v_rcp_f32_e32 v20, v20                                     // 000000005658: 7E284514
	v_rcp_f32_e32 v21, v21                                     // 00000000565C: 7E2A4515
	v_mov_b32_e32 v42, 0x43700000                              // 000000005660: 7E5402FF 43700000
	v_mul_f32_e32 v20, v42, v20                                // 000000005668: 0A28292A
	v_mul_f32_e32 v21, v42, v21                                // 00000000566C: 0A2A2B2A
	v_mul_f32_e32 v128, v20, v128                              // 000000005670: 0B010114
	v_mul_f32_e32 v129, v20, v129                              // 000000005674: 0B030314
	v_mul_f32_e32 v130, v20, v130                              // 000000005678: 0B050514
	v_mul_f32_e32 v131, v20, v131                              // 00000000567C: 0B070714
	v_cvt_pk_fp8_f32 v128, v128, v129                          // 000000005680: D2A20080 00030380
	v_cvt_pk_fp8_f32 v128, v130, v131 op_sel:[0,0,1]           // 000000005688: D2A24080 00030782
	v_mul_f32_e32 v132, v21, v132                              // 000000005690: 0B090915
	v_mul_f32_e32 v133, v21, v133                              // 000000005694: 0B0B0B15
	v_mul_f32_e32 v134, v21, v134                              // 000000005698: 0B0D0D15
	v_mul_f32_e32 v135, v21, v135                              // 00000000569C: 0B0F0F15
	v_cvt_pk_fp8_f32 v129, v132, v133                          // 0000000056A0: D2A20081 00030B84
	v_cvt_pk_fp8_f32 v129, v134, v135 op_sel:[0,0,1]           // 0000000056A8: D2A24081 00030F86
	v_rcp_f32_e32 v22, v20                                     // 0000000056B0: 7E2C4514
	v_rcp_f32_e32 v23, v21                                     // 0000000056B4: 7E2E4515
	v_lshrrev_b32_e32 v42, 5, v0                               // 0000000056B8: 20540085
	v_lshlrev_b32_e32 v43, 5, v42                              // 0000000056BC: 24565485
	v_and_b32_e32 v42, 31, v0                                  // 0000000056C0: 2654009F
	v_lshrrev_b32_e32 v44, 4, v42                              // 0000000056C4: 20585484
	v_add_u32_e32 v43, v44, v43                                // 0000000056C8: 6856572C
	v_and_b32_e32 v42, 15, v0                                  // 0000000056CC: 2654008F
	v_lshlrev_b32_e32 v42, 1, v42                              // 0000000056D0: 24545481
	v_add_u32_e32 v43, v42, v43                                // 0000000056D4: 6856572A
	v_lshlrev_b32_e32 v42, 2, v43                              // 0000000056D8: 24545682
	s_mul_i32 s60, 0x100, s7                                   // 0000000056DC: 923C07FF 00000100
	v_add_u32_e64 v42, v42, s60                                // 0000000056E4: D134002A 0000792A
	ds_write_b32 v42, v128 offset:18688                        // 0000000056EC: D81A4900 0000802A
	ds_write_b32 v42, v129 offset:19712                        // 0000000056F4: D81A4D00 0000812A
	s_waitcnt lgkmcnt(0)                                       // 0000000056FC: BF8CC07F
	s_barrier                                                  // 000000005700: BF8A0000
	v_lshrrev_b32_e32 v42, 4, v0                               // 000000005704: 20540084
	v_lshlrev_b32_e32 v43, 6, v42                              // 000000005708: 24565486
	v_and_b32_e32 v42, 15, v0                                  // 00000000570C: 2654008F
	v_lshlrev_b32_e32 v42, 1, v42                              // 000000005710: 24545481
	v_add_u32_e32 v43, v42, v43                                // 000000005714: 6856572A
	v_lshlrev_b32_e32 v42, 2, v43                              // 000000005718: 24545682
	ds_read_b64 v[128:129], v42 offset:18688                   // 00000000571C: D8EC4900 8000002A
	ds_read_b64 v[130:131], v42 offset:18816                   // 000000005724: D8EC4980 8200002A
	ds_read_b64 v[132:133], v42 offset:19712                   // 00000000572C: D8EC4D00 8400002A
	ds_read_b64 v[134:135], v42 offset:19840                   // 000000005734: D8EC4D80 8600002A
	s_add_u32 s12, s56, s12                                    // 00000000573C: 800C0C38
	s_addc_u32 s13, 0, s13                                     // 000000005740: 820D0D80
	s_add_u32 s16, s79, s16                                    // 000000005744: 8010104F
	s_addc_u32 s17, 0, s17                                     // 000000005748: 82111180
	s_mov_b32 s80, 0                                           // 00000000574C: BED00080
	s_waitcnt vmcnt(0) expcnt(0) lgkmcnt(0)                    // 000000005750: BF8C0000

0000000000005754 <label_0B15>:
	s_waitcnt vmcnt(17)                                        // 000000005754: BF8C4F71
	s_barrier                                                  // 000000005758: BF8A0000
	s_waitcnt vmcnt(16)                                        // 00000000575C: BF8C4F70
	v_mfma_f32_16x16x32_fp8_fp8 v[136:139], a[0:1], v[128:129], 0// 000000005760: D3F30088 0A030100
	buffer_load_dwordx4 a[16:19], v33, s[12:15], 0 offen       // 000000005768: E05C1000 80831021
	v_mfma_f32_16x16x32_fp8_fp8 v[136:139], a[2:3], v[130:131], v[136:139]// 000000005770: D3F30088 0E230502
	v_mfma_f32_16x16x32_fp8_fp8 v[140:143], a[0:1], v[132:133], 0// 000000005778: D3F3008C 0A030900
	buffer_load_dword v12, v5, s[16:19], 0 offen               // 000000005780: E0501000 80040C05
	v_mfma_f32_16x16x32_fp8_fp8 v[140:143], a[2:3], v[134:135], v[140:143]// 000000005788: D3F3008C 0E330D02
	v_mfma_f32_16x16x32_fp8_fp8 v[144:147], a[4:5], v[128:129], 0// 000000005790: D3F30090 0A030104
	buffer_load_dwordx4 a[20:23], v34, s[12:15], 0 offen       // 000000005798: E05C1000 80831422
	v_mfma_f32_16x16x32_fp8_fp8 v[144:147], a[6:7], v[130:131], v[144:147]// 0000000057A0: D3F30090 0E430506
	v_mfma_f32_16x16x32_fp8_fp8 v[148:151], a[4:5], v[132:133], 0// 0000000057A8: D3F30094 0A030904
	v_mfma_f32_16x16x32_fp8_fp8 v[148:151], a[6:7], v[134:135], v[148:151]// 0000000057B0: D3F30094 0E530D06
	v_mfma_f32_16x16x32_fp8_fp8 v[152:155], a[8:9], v[128:129], 0// 0000000057B8: D3F30098 0A030108
	buffer_load_dwordx4 a[24:27], v35, s[12:15], 0 offen       // 0000000057C0: E05C1000 80831823
	v_mfma_f32_16x16x32_fp8_fp8 v[152:155], a[10:11], v[130:131], v[152:155]// 0000000057C8: D3F30098 0E63050A
	v_mfma_f32_16x16x32_fp8_fp8 v[156:159], a[8:9], v[132:133], 0// 0000000057D0: D3F3009C 0A030908
	v_mfma_f32_16x16x32_fp8_fp8 v[156:159], a[10:11], v[134:135], v[156:159]// 0000000057D8: D3F3009C 0E730D0A
	v_mfma_f32_16x16x32_fp8_fp8 v[160:163], a[12:13], v[128:129], 0// 0000000057E0: D3F300A0 0A03010C
	buffer_load_dwordx4 a[28:31], v36, s[12:15], 0 offen       // 0000000057E8: E05C1000 80831C24
	v_mfma_f32_16x16x32_fp8_fp8 v[160:163], a[14:15], v[130:131], v[160:163]// 0000000057F0: D3F300A0 0E83050E
	v_mfma_f32_16x16x32_fp8_fp8 v[164:167], a[12:13], v[132:133], 0// 0000000057F8: D3F300A4 0A03090C
	v_mfma_f32_16x16x32_fp8_fp8 v[164:167], a[14:15], v[134:135], v[164:167]// 000000005800: D3F300A4 0E930D0E
	s_add_u32 s60, 0x200, s80                                  // 000000005808: 803C50FF 00000200
	s_cmp_lt_u32 s60, s81                                      // 000000005810: BF0A513C
	s_cselect_b32 s56, s56, 0                                  // 000000005814: 85388038
	s_cselect_b32 s78, s78, 0                                  // 000000005818: 854E804E
	s_cselect_b32 s79, s79, 0                                  // 00000000581C: 854F804F
	s_add_u32 s12, s56, s12                                    // 000000005820: 800C0C38
	s_addc_u32 s13, 0, s13                                     // 000000005824: 820D0D80
	s_add_u32 s16, s79, s16                                    // 000000005828: 8010104F
	s_addc_u32 s17, 0, s17                                     // 00000000582C: 82111180
	v_mul_f32_e32 v136, v22, v136                              // 000000005830: 0B111116
	v_mul_f32_e32 v137, v22, v137                              // 000000005834: 0B131316
	v_mul_f32_e32 v138, v22, v138                              // 000000005838: 0B151516
	v_mul_f32_e32 v139, v22, v139                              // 00000000583C: 0B171716
	v_mul_f32_dpp v136, v11, v136 row_newbcast:0 row_mask:0xf bank_mask:0xf// 000000005840: 0B1110FA FF01500B
	v_mul_f32_dpp v137, v11, v137 row_newbcast:1 row_mask:0xf bank_mask:0xf// 000000005848: 0B1312FA FF01510B
	v_mul_f32_dpp v138, v11, v138 row_newbcast:2 row_mask:0xf bank_mask:0xf// 000000005850: 0B1514FA FF01520B
	v_mul_f32_dpp v139, v11, v139 row_newbcast:3 row_mask:0xf bank_mask:0xf// 000000005858: 0B1716FA FF01530B
	v_mul_f32_e32 v140, v23, v140                              // 000000005860: 0B191917
	v_mul_f32_e32 v141, v23, v141                              // 000000005864: 0B1B1B17
	v_mul_f32_e32 v142, v23, v142                              // 000000005868: 0B1D1D17
	v_mul_f32_e32 v143, v23, v143                              // 00000000586C: 0B1F1F17
	v_mul_f32_dpp v140, v11, v140 row_newbcast:0 row_mask:0xf bank_mask:0xf// 000000005870: 0B1918FA FF01500B
	v_mul_f32_dpp v141, v11, v141 row_newbcast:1 row_mask:0xf bank_mask:0xf// 000000005878: 0B1B1AFA FF01510B
	v_mul_f32_dpp v142, v11, v142 row_newbcast:2 row_mask:0xf bank_mask:0xf// 000000005880: 0B1D1CFA FF01520B
	v_mul_f32_dpp v143, v11, v143 row_newbcast:3 row_mask:0xf bank_mask:0xf// 000000005888: 0B1F1EFA FF01530B
	v_mul_f32_e32 v144, v22, v144                              // 000000005890: 0B212116
	v_mul_f32_e32 v145, v22, v145                              // 000000005894: 0B232316
	v_mul_f32_e32 v146, v22, v146                              // 000000005898: 0B252516
	v_mul_f32_e32 v147, v22, v147                              // 00000000589C: 0B272716
	v_mul_f32_dpp v144, v11, v144 row_newbcast:4 row_mask:0xf bank_mask:0xf// 0000000058A0: 0B2120FA FF01540B
	v_mul_f32_dpp v145, v11, v145 row_newbcast:5 row_mask:0xf bank_mask:0xf// 0000000058A8: 0B2322FA FF01550B
	v_mul_f32_dpp v146, v11, v146 row_newbcast:6 row_mask:0xf bank_mask:0xf// 0000000058B0: 0B2524FA FF01560B
	v_mul_f32_dpp v147, v11, v147 row_newbcast:7 row_mask:0xf bank_mask:0xf// 0000000058B8: 0B2726FA FF01570B
	v_mul_f32_e32 v148, v23, v148                              // 0000000058C0: 0B292917
	v_mul_f32_e32 v149, v23, v149                              // 0000000058C4: 0B2B2B17
	v_mul_f32_e32 v150, v23, v150                              // 0000000058C8: 0B2D2D17
	v_mul_f32_e32 v151, v23, v151                              // 0000000058CC: 0B2F2F17
	v_mul_f32_dpp v148, v11, v148 row_newbcast:4 row_mask:0xf bank_mask:0xf// 0000000058D0: 0B2928FA FF01540B
	v_mul_f32_dpp v149, v11, v149 row_newbcast:5 row_mask:0xf bank_mask:0xf// 0000000058D8: 0B2B2AFA FF01550B
	v_mul_f32_dpp v150, v11, v150 row_newbcast:6 row_mask:0xf bank_mask:0xf// 0000000058E0: 0B2D2CFA FF01560B
	v_mul_f32_dpp v151, v11, v151 row_newbcast:7 row_mask:0xf bank_mask:0xf// 0000000058E8: 0B2F2EFA FF01570B
	v_mul_f32_e32 v152, v22, v152                              // 0000000058F0: 0B313116
	v_mul_f32_e32 v153, v22, v153                              // 0000000058F4: 0B333316
	v_mul_f32_e32 v154, v22, v154                              // 0000000058F8: 0B353516
	v_mul_f32_e32 v155, v22, v155                              // 0000000058FC: 0B373716
	v_mul_f32_dpp v152, v11, v152 row_newbcast:8 row_mask:0xf bank_mask:0xf// 000000005900: 0B3130FA FF01580B
	v_mul_f32_dpp v153, v11, v153 row_newbcast:9 row_mask:0xf bank_mask:0xf// 000000005908: 0B3332FA FF01590B
	v_mul_f32_dpp v154, v11, v154 row_newbcast:10 row_mask:0xf bank_mask:0xf// 000000005910: 0B3534FA FF015A0B
	v_mul_f32_dpp v155, v11, v155 row_newbcast:11 row_mask:0xf bank_mask:0xf// 000000005918: 0B3736FA FF015B0B
	v_mul_f32_e32 v156, v23, v156                              // 000000005920: 0B393917
	v_mul_f32_e32 v157, v23, v157                              // 000000005924: 0B3B3B17
	v_mul_f32_e32 v158, v23, v158                              // 000000005928: 0B3D3D17
	v_mul_f32_e32 v159, v23, v159                              // 00000000592C: 0B3F3F17
	v_mul_f32_dpp v156, v11, v156 row_newbcast:8 row_mask:0xf bank_mask:0xf// 000000005930: 0B3938FA FF01580B
	v_mul_f32_dpp v157, v11, v157 row_newbcast:9 row_mask:0xf bank_mask:0xf// 000000005938: 0B3B3AFA FF01590B
	v_mul_f32_dpp v158, v11, v158 row_newbcast:10 row_mask:0xf bank_mask:0xf// 000000005940: 0B3D3CFA FF015A0B
	v_mul_f32_dpp v159, v11, v159 row_newbcast:11 row_mask:0xf bank_mask:0xf// 000000005948: 0B3F3EFA FF015B0B
	v_mul_f32_e32 v160, v22, v160                              // 000000005950: 0B414116
	v_mul_f32_e32 v161, v22, v161                              // 000000005954: 0B434316
	v_mul_f32_e32 v162, v22, v162                              // 000000005958: 0B454516
	v_mul_f32_e32 v163, v22, v163                              // 00000000595C: 0B474716
	v_mul_f32_dpp v160, v11, v160 row_newbcast:12 row_mask:0xf bank_mask:0xf// 000000005960: 0B4140FA FF015C0B
	v_mul_f32_dpp v161, v11, v161 row_newbcast:13 row_mask:0xf bank_mask:0xf// 000000005968: 0B4342FA FF015D0B
	v_mul_f32_dpp v162, v11, v162 row_newbcast:14 row_mask:0xf bank_mask:0xf// 000000005970: 0B4544FA FF015E0B
	v_mul_f32_dpp v163, v11, v163 row_newbcast:15 row_mask:0xf bank_mask:0xf// 000000005978: 0B4746FA FF015F0B
	v_mul_f32_e32 v164, v23, v164                              // 000000005980: 0B494917
	v_mul_f32_e32 v165, v23, v165                              // 000000005984: 0B4B4B17
	v_mul_f32_e32 v166, v23, v166                              // 000000005988: 0B4D4D17
	v_mul_f32_e32 v167, v23, v167                              // 00000000598C: 0B4F4F17
	v_mul_f32_dpp v164, v11, v164 row_newbcast:12 row_mask:0xf bank_mask:0xf// 000000005990: 0B4948FA FF015C0B
	v_mul_f32_dpp v165, v11, v165 row_newbcast:13 row_mask:0xf bank_mask:0xf// 000000005998: 0B4B4AFA FF015D0B
	v_mul_f32_dpp v166, v11, v166 row_newbcast:14 row_mask:0xf bank_mask:0xf// 0000000059A0: 0B4D4CFA FF015E0B
	v_mul_f32_dpp v167, v11, v167 row_newbcast:15 row_mask:0xf bank_mask:0xf// 0000000059A8: 0B4F4EFA FF015F0B
	v_cmp_u_f32_e64 s[48:49], v136, v136                       // 0000000059B0: D0480030 00031188
	v_add3_u32 v37, v136, v40, 1                               // 0000000059B8: D1FF0025 02065188
	v_cndmask_b32_e64 v42, v37, v39, s[48:49]                  // 0000000059C0: D100002A 00C24F25
	v_cmp_u_f32_e64 s[48:49], v137, v137                       // 0000000059C8: D0480030 00031389
	v_add3_u32 v37, v137, v40, 1                               // 0000000059D0: D1FF0025 02065189
	v_cndmask_b32_e64 v43, v37, v39, s[48:49]                  // 0000000059D8: D100002B 00C24F25
	v_perm_b32 v136, v43, v42, s52                             // 0000000059E0: D1ED0088 00D2552B
	v_cmp_u_f32_e64 s[48:49], v138, v138                       // 0000000059E8: D0480030 0003158A
	v_add3_u32 v37, v138, v40, 1                               // 0000000059F0: D1FF0025 0206518A
	v_cndmask_b32_e64 v42, v37, v39, s[48:49]                  // 0000000059F8: D100002A 00C24F25
	v_cmp_u_f32_e64 s[48:49], v139, v139                       // 000000005A00: D0480030 0003178B
	v_add3_u32 v37, v139, v40, 1                               // 000000005A08: D1FF0025 0206518B
	v_cndmask_b32_e64 v43, v37, v39, s[48:49]                  // 000000005A10: D100002B 00C24F25
	v_perm_b32 v137, v43, v42, s52                             // 000000005A18: D1ED0089 00D2552B
	v_cmp_u_f32_e64 s[48:49], v140, v140                       // 000000005A20: D0480030 0003198C
	v_add3_u32 v37, v140, v40, 1                               // 000000005A28: D1FF0025 0206518C
	v_cndmask_b32_e64 v42, v37, v39, s[48:49]                  // 000000005A30: D100002A 00C24F25
	v_cmp_u_f32_e64 s[48:49], v141, v141                       // 000000005A38: D0480030 00031B8D
	v_add3_u32 v37, v141, v40, 1                               // 000000005A40: D1FF0025 0206518D
	v_cndmask_b32_e64 v43, v37, v39, s[48:49]                  // 000000005A48: D100002B 00C24F25
	v_perm_b32 v138, v43, v42, s52                             // 000000005A50: D1ED008A 00D2552B
	v_cmp_u_f32_e64 s[48:49], v142, v142                       // 000000005A58: D0480030 00031D8E
	v_add3_u32 v37, v142, v40, 1                               // 000000005A60: D1FF0025 0206518E
	v_cndmask_b32_e64 v42, v37, v39, s[48:49]                  // 000000005A68: D100002A 00C24F25
	v_cmp_u_f32_e64 s[48:49], v143, v143                       // 000000005A70: D0480030 00031F8F
	v_add3_u32 v37, v143, v40, 1                               // 000000005A78: D1FF0025 0206518F
	v_cndmask_b32_e64 v43, v37, v39, s[48:49]                  // 000000005A80: D100002B 00C24F25
	v_perm_b32 v139, v43, v42, s52                             // 000000005A88: D1ED008B 00D2552B
	v_cmp_u_f32_e64 s[48:49], v144, v144                       // 000000005A90: D0480030 00032190
	v_add3_u32 v37, v144, v40, 1                               // 000000005A98: D1FF0025 02065190
	v_cndmask_b32_e64 v42, v37, v39, s[48:49]                  // 000000005AA0: D100002A 00C24F25
	v_cmp_u_f32_e64 s[48:49], v145, v145                       // 000000005AA8: D0480030 00032391
	v_add3_u32 v37, v145, v40, 1                               // 000000005AB0: D1FF0025 02065191
	v_cndmask_b32_e64 v43, v37, v39, s[48:49]                  // 000000005AB8: D100002B 00C24F25
	v_perm_b32 v140, v43, v42, s52                             // 000000005AC0: D1ED008C 00D2552B
	v_cmp_u_f32_e64 s[48:49], v146, v146                       // 000000005AC8: D0480030 00032592
	v_add3_u32 v37, v146, v40, 1                               // 000000005AD0: D1FF0025 02065192
	v_cndmask_b32_e64 v42, v37, v39, s[48:49]                  // 000000005AD8: D100002A 00C24F25
	v_cmp_u_f32_e64 s[48:49], v147, v147                       // 000000005AE0: D0480030 00032793
	v_add3_u32 v37, v147, v40, 1                               // 000000005AE8: D1FF0025 02065193
	v_cndmask_b32_e64 v43, v37, v39, s[48:49]                  // 000000005AF0: D100002B 00C24F25
	v_perm_b32 v141, v43, v42, s52                             // 000000005AF8: D1ED008D 00D2552B
	v_cmp_u_f32_e64 s[48:49], v148, v148                       // 000000005B00: D0480030 00032994
	v_add3_u32 v37, v148, v40, 1                               // 000000005B08: D1FF0025 02065194
	v_cndmask_b32_e64 v42, v37, v39, s[48:49]                  // 000000005B10: D100002A 00C24F25
	v_cmp_u_f32_e64 s[48:49], v149, v149                       // 000000005B18: D0480030 00032B95
	v_add3_u32 v37, v149, v40, 1                               // 000000005B20: D1FF0025 02065195
	v_cndmask_b32_e64 v43, v37, v39, s[48:49]                  // 000000005B28: D100002B 00C24F25
	v_perm_b32 v142, v43, v42, s52                             // 000000005B30: D1ED008E 00D2552B
	v_cmp_u_f32_e64 s[48:49], v150, v150                       // 000000005B38: D0480030 00032D96
	v_add3_u32 v37, v150, v40, 1                               // 000000005B40: D1FF0025 02065196
	v_cndmask_b32_e64 v42, v37, v39, s[48:49]                  // 000000005B48: D100002A 00C24F25
	v_cmp_u_f32_e64 s[48:49], v151, v151                       // 000000005B50: D0480030 00032F97
	v_add3_u32 v37, v151, v40, 1                               // 000000005B58: D1FF0025 02065197
	v_cndmask_b32_e64 v43, v37, v39, s[48:49]                  // 000000005B60: D100002B 00C24F25
	v_perm_b32 v143, v43, v42, s52                             // 000000005B68: D1ED008F 00D2552B
	v_cmp_u_f32_e64 s[48:49], v152, v152                       // 000000005B70: D0480030 00033198
	v_add3_u32 v37, v152, v40, 1                               // 000000005B78: D1FF0025 02065198
	v_cndmask_b32_e64 v42, v37, v39, s[48:49]                  // 000000005B80: D100002A 00C24F25
	v_cmp_u_f32_e64 s[48:49], v153, v153                       // 000000005B88: D0480030 00033399
	v_add3_u32 v37, v153, v40, 1                               // 000000005B90: D1FF0025 02065199
	v_cndmask_b32_e64 v43, v37, v39, s[48:49]                  // 000000005B98: D100002B 00C24F25
	v_perm_b32 v144, v43, v42, s52                             // 000000005BA0: D1ED0090 00D2552B
	v_cmp_u_f32_e64 s[48:49], v154, v154                       // 000000005BA8: D0480030 0003359A
	v_add3_u32 v37, v154, v40, 1                               // 000000005BB0: D1FF0025 0206519A
	v_cndmask_b32_e64 v42, v37, v39, s[48:49]                  // 000000005BB8: D100002A 00C24F25
	v_cmp_u_f32_e64 s[48:49], v155, v155                       // 000000005BC0: D0480030 0003379B
	v_add3_u32 v37, v155, v40, 1                               // 000000005BC8: D1FF0025 0206519B
	v_cndmask_b32_e64 v43, v37, v39, s[48:49]                  // 000000005BD0: D100002B 00C24F25
	v_perm_b32 v145, v43, v42, s52                             // 000000005BD8: D1ED0091 00D2552B
	v_cmp_u_f32_e64 s[48:49], v156, v156                       // 000000005BE0: D0480030 0003399C
	v_add3_u32 v37, v156, v40, 1                               // 000000005BE8: D1FF0025 0206519C
	v_cndmask_b32_e64 v42, v37, v39, s[48:49]                  // 000000005BF0: D100002A 00C24F25
	v_cmp_u_f32_e64 s[48:49], v157, v157                       // 000000005BF8: D0480030 00033B9D
	v_add3_u32 v37, v157, v40, 1                               // 000000005C00: D1FF0025 0206519D
	v_cndmask_b32_e64 v43, v37, v39, s[48:49]                  // 000000005C08: D100002B 00C24F25
	v_perm_b32 v146, v43, v42, s52                             // 000000005C10: D1ED0092 00D2552B
	v_cmp_u_f32_e64 s[48:49], v158, v158                       // 000000005C18: D0480030 00033D9E
	v_add3_u32 v37, v158, v40, 1                               // 000000005C20: D1FF0025 0206519E
	v_cndmask_b32_e64 v42, v37, v39, s[48:49]                  // 000000005C28: D100002A 00C24F25
	v_cmp_u_f32_e64 s[48:49], v159, v159                       // 000000005C30: D0480030 00033F9F
	v_add3_u32 v37, v159, v40, 1                               // 000000005C38: D1FF0025 0206519F
	v_cndmask_b32_e64 v43, v37, v39, s[48:49]                  // 000000005C40: D100002B 00C24F25
	v_perm_b32 v147, v43, v42, s52                             // 000000005C48: D1ED0093 00D2552B
	v_cmp_u_f32_e64 s[48:49], v160, v160                       // 000000005C50: D0480030 000341A0
	v_add3_u32 v37, v160, v40, 1                               // 000000005C58: D1FF0025 020651A0
	v_cndmask_b32_e64 v42, v37, v39, s[48:49]                  // 000000005C60: D100002A 00C24F25
	v_cmp_u_f32_e64 s[48:49], v161, v161                       // 000000005C68: D0480030 000343A1
	v_add3_u32 v37, v161, v40, 1                               // 000000005C70: D1FF0025 020651A1
	v_cndmask_b32_e64 v43, v37, v39, s[48:49]                  // 000000005C78: D100002B 00C24F25
	v_perm_b32 v148, v43, v42, s52                             // 000000005C80: D1ED0094 00D2552B
	v_cmp_u_f32_e64 s[48:49], v162, v162                       // 000000005C88: D0480030 000345A2
	v_add3_u32 v37, v162, v40, 1                               // 000000005C90: D1FF0025 020651A2
	v_cndmask_b32_e64 v42, v37, v39, s[48:49]                  // 000000005C98: D100002A 00C24F25
	v_cmp_u_f32_e64 s[48:49], v163, v163                       // 000000005CA0: D0480030 000347A3
	v_add3_u32 v37, v163, v40, 1                               // 000000005CA8: D1FF0025 020651A3
	v_cndmask_b32_e64 v43, v37, v39, s[48:49]                  // 000000005CB0: D100002B 00C24F25
	v_perm_b32 v149, v43, v42, s52                             // 000000005CB8: D1ED0095 00D2552B
	v_cmp_u_f32_e64 s[48:49], v164, v164                       // 000000005CC0: D0480030 000349A4
	v_add3_u32 v37, v164, v40, 1                               // 000000005CC8: D1FF0025 020651A4
	v_cndmask_b32_e64 v42, v37, v39, s[48:49]                  // 000000005CD0: D100002A 00C24F25
	v_cmp_u_f32_e64 s[48:49], v165, v165                       // 000000005CD8: D0480030 00034BA5
	v_add3_u32 v37, v165, v40, 1                               // 000000005CE0: D1FF0025 020651A5
	v_cndmask_b32_e64 v43, v37, v39, s[48:49]                  // 000000005CE8: D100002B 00C24F25
	v_perm_b32 v150, v43, v42, s52                             // 000000005CF0: D1ED0096 00D2552B
	v_cmp_u_f32_e64 s[48:49], v166, v166                       // 000000005CF8: D0480030 00034DA6
	v_add3_u32 v37, v166, v40, 1                               // 000000005D00: D1FF0025 020651A6
	v_cndmask_b32_e64 v42, v37, v39, s[48:49]                  // 000000005D08: D100002A 00C24F25
	v_cmp_u_f32_e64 s[48:49], v167, v167                       // 000000005D10: D0480030 00034FA7
	v_add3_u32 v37, v167, v40, 1                               // 000000005D18: D1FF0025 020651A7
	v_cndmask_b32_e64 v43, v37, v39, s[48:49]                  // 000000005D20: D100002B 00C24F25
	v_perm_b32 v151, v43, v42, s52                             // 000000005D28: D1ED0097 00D2552B
	ds_write_b64 v3, v[136:137] offset:20736                   // 000000005D30: D89A5100 00008803
	ds_write_b64 v3, v[138:139] offset:29440                   // 000000005D38: D89A7300 00008A03
	ds_write_b64 v3, v[140:141] offset:22912                   // 000000005D40: D89A5980 00008C03
	ds_write_b64 v3, v[142:143] offset:31616                   // 000000005D48: D89A7B80 00008E03
	ds_write_b64 v3, v[144:145] offset:25088                   // 000000005D50: D89A6200 00009003
	ds_write_b64 v3, v[146:147] offset:33792                   // 000000005D58: D89A8400 00009203
	ds_write_b64 v3, v[148:149] offset:27264                   // 000000005D60: D89A6A80 00009403
	ds_write_b64 v3, v[150:151] offset:35968                   // 000000005D68: D89A8C80 00009603
	s_waitcnt lgkmcnt(0)                                       // 000000005D70: BF8CC07F
	s_barrier                                                  // 000000005D74: BF8A0000
	ds_read_b32 v64, v4 offset:20736                           // 000000005D78: D86C5100 40000004
	ds_read_b32 v65, v4 offset:25088                           // 000000005D80: D86C6200 41000004
	ds_read_b32 v66, v4 offset:20768                           // 000000005D88: D86C5120 42000004
	ds_read_b32 v67, v4 offset:25120                           // 000000005D90: D86C6220 43000004
	ds_read_b32 v68, v4 offset:20800                           // 000000005D98: D86C5140 44000004
	ds_read_b32 v69, v4 offset:25152                           // 000000005DA0: D86C6240 45000004
	ds_read_b32 v70, v4 offset:20832                           // 000000005DA8: D86C5160 46000004
	ds_read_b32 v71, v4 offset:25184                           // 000000005DB0: D86C6260 47000004
	ds_read_b32 v72, v4 offset:29440                           // 000000005DB8: D86C7300 48000004
	ds_read_b32 v73, v4 offset:33792                           // 000000005DC0: D86C8400 49000004
	ds_read_b32 v74, v4 offset:29472                           // 000000005DC8: D86C7320 4A000004
	ds_read_b32 v75, v4 offset:33824                           // 000000005DD0: D86C8420 4B000004
	ds_read_b32 v76, v4 offset:29504                           // 000000005DD8: D86C7340 4C000004
	ds_read_b32 v77, v4 offset:33856                           // 000000005DE0: D86C8440 4D000004
	ds_read_b32 v78, v4 offset:29536                           // 000000005DE8: D86C7360 4E000004
	ds_read_b32 v79, v4 offset:33888                           // 000000005DF0: D86C8460 4F000004
	s_waitcnt lgkmcnt(0)                                       // 000000005DF8: BF8CC07F
	s_mov_b64 exec, s[20:21]                                   // 000000005DFC: BEFE0114
	global_atomic_pk_add_bf16 v80, v64, s[8:9]                 // 000000005E00: DD488000 00084050
	s_mov_b64 exec, s[36:37]                                   // 000000005E08: BEFE0124
	s_mov_b64 exec, s[20:21]                                   // 000000005E0C: BEFE0114
	global_atomic_pk_add_bf16 v80, v65, s[8:9] offset:256      // 000000005E10: DD488100 00084150
	s_mov_b64 exec, s[36:37]                                   // 000000005E18: BEFE0124
	s_mov_b64 exec, s[22:23]                                   // 000000005E1C: BEFE0116
	global_atomic_pk_add_bf16 v82, v66, s[8:9]                 // 000000005E20: DD488000 00084252
	s_mov_b64 exec, s[36:37]                                   // 000000005E28: BEFE0124
	s_mov_b64 exec, s[22:23]                                   // 000000005E2C: BEFE0116
	global_atomic_pk_add_bf16 v82, v67, s[8:9] offset:256      // 000000005E30: DD488100 00084352
	s_mov_b64 exec, s[36:37]                                   // 000000005E38: BEFE0124
	s_mov_b64 exec, s[24:25]                                   // 000000005E3C: BEFE0118
	global_atomic_pk_add_bf16 v84, v68, s[8:9]                 // 000000005E40: DD488000 00084454
	s_mov_b64 exec, s[36:37]                                   // 000000005E48: BEFE0124
	s_mov_b64 exec, s[24:25]                                   // 000000005E4C: BEFE0118
	global_atomic_pk_add_bf16 v84, v69, s[8:9] offset:256      // 000000005E50: DD488100 00084554
	s_mov_b64 exec, s[36:37]                                   // 000000005E58: BEFE0124
	s_mov_b64 exec, s[26:27]                                   // 000000005E5C: BEFE011A
	global_atomic_pk_add_bf16 v86, v70, s[8:9]                 // 000000005E60: DD488000 00084656
	s_mov_b64 exec, s[36:37]                                   // 000000005E68: BEFE0124
	s_mov_b64 exec, s[26:27]                                   // 000000005E6C: BEFE011A
	global_atomic_pk_add_bf16 v86, v71, s[8:9] offset:256      // 000000005E70: DD488100 00084756
	s_mov_b64 exec, s[36:37]                                   // 000000005E78: BEFE0124
	s_mov_b64 exec, s[28:29]                                   // 000000005E7C: BEFE011C
	global_atomic_pk_add_bf16 v88, v72, s[8:9]                 // 000000005E80: DD488000 00084858
	s_mov_b64 exec, s[36:37]                                   // 000000005E88: BEFE0124
	s_mov_b64 exec, s[28:29]                                   // 000000005E8C: BEFE011C
	global_atomic_pk_add_bf16 v88, v73, s[8:9] offset:256      // 000000005E90: DD488100 00084958
	s_mov_b64 exec, s[36:37]                                   // 000000005E98: BEFE0124
	s_mov_b64 exec, s[30:31]                                   // 000000005E9C: BEFE011E
	global_atomic_pk_add_bf16 v90, v74, s[8:9]                 // 000000005EA0: DD488000 00084A5A
	s_mov_b64 exec, s[36:37]                                   // 000000005EA8: BEFE0124
	s_mov_b64 exec, s[30:31]                                   // 000000005EAC: BEFE011E
	global_atomic_pk_add_bf16 v90, v75, s[8:9] offset:256      // 000000005EB0: DD488100 00084B5A
	s_mov_b64 exec, s[36:37]                                   // 000000005EB8: BEFE0124
	s_mov_b64 exec, s[32:33]                                   // 000000005EBC: BEFE0120
	global_atomic_pk_add_bf16 v92, v76, s[8:9]                 // 000000005EC0: DD488000 00084C5C
	s_mov_b64 exec, s[36:37]                                   // 000000005EC8: BEFE0124
	s_mov_b64 exec, s[32:33]                                   // 000000005ECC: BEFE0120
	global_atomic_pk_add_bf16 v92, v77, s[8:9] offset:256      // 000000005ED0: DD488100 00084D5C
	s_mov_b64 exec, s[36:37]                                   // 000000005ED8: BEFE0124
	s_mov_b64 exec, s[34:35]                                   // 000000005EDC: BEFE0122
	global_atomic_pk_add_bf16 v94, v78, s[8:9]                 // 000000005EE0: DD488000 00084E5E
	s_mov_b64 exec, s[36:37]                                   // 000000005EE8: BEFE0124
	s_mov_b64 exec, s[34:35]                                   // 000000005EEC: BEFE0122
	global_atomic_pk_add_bf16 v94, v79, s[8:9] offset:256      // 000000005EF0: DD488100 00084F5E
	s_mov_b64 exec, s[36:37]                                   // 000000005EF8: BEFE0124
	s_add_u32 s8, s59, s8                                      // 000000005EFC: 8008083B
	s_addc_u32 s9, 0, s9                                       // 000000005F00: 82090980
	s_addk_i32 s80, 0x100                                      // 000000005F04: B7500100
	s_cmp_lt_i32 s80, s81                                      // 000000005F08: BF045150
	s_cbranch_scc0 label_0874                                  // 000000005F0C: BF84FB70
	s_waitcnt vmcnt(17)                                        // 000000005F10: BF8C4F71
	s_barrier                                                  // 000000005F14: BF8A0000
	s_waitcnt vmcnt(16)                                        // 000000005F18: BF8C4F70
	v_mfma_f32_16x16x32_fp8_fp8 v[168:171], a[16:17], v[128:129], 0// 000000005F1C: D3F300A8 0A030110
	buffer_load_dwordx4 a[0:3], v33, s[12:15], 0 offen         // 000000005F24: E05C1000 80830021
	v_mfma_f32_16x16x32_fp8_fp8 v[168:171], a[18:19], v[130:131], v[168:171]// 000000005F2C: D3F300A8 0EA30512
	v_mfma_f32_16x16x32_fp8_fp8 v[172:175], a[16:17], v[132:133], 0// 000000005F34: D3F300AC 0A030910
	buffer_load_dword v11, v5, s[16:19], 0 offen               // 000000005F3C: E0501000 80040B05
	v_mfma_f32_16x16x32_fp8_fp8 v[172:175], a[18:19], v[134:135], v[172:175]// 000000005F44: D3F300AC 0EB30D12
	v_mfma_f32_16x16x32_fp8_fp8 v[176:179], a[20:21], v[128:129], 0// 000000005F4C: D3F300B0 0A030114
	buffer_load_dwordx4 a[4:7], v34, s[12:15], 0 offen         // 000000005F54: E05C1000 80830422
	v_mfma_f32_16x16x32_fp8_fp8 v[176:179], a[22:23], v[130:131], v[176:179]// 000000005F5C: D3F300B0 0EC30516
	v_mfma_f32_16x16x32_fp8_fp8 v[180:183], a[20:21], v[132:133], 0// 000000005F64: D3F300B4 0A030914
	v_mfma_f32_16x16x32_fp8_fp8 v[180:183], a[22:23], v[134:135], v[180:183]// 000000005F6C: D3F300B4 0ED30D16
	v_mfma_f32_16x16x32_fp8_fp8 v[184:187], a[24:25], v[128:129], 0// 000000005F74: D3F300B8 0A030118
	buffer_load_dwordx4 a[8:11], v35, s[12:15], 0 offen        // 000000005F7C: E05C1000 80830823
	v_mfma_f32_16x16x32_fp8_fp8 v[184:187], a[26:27], v[130:131], v[184:187]// 000000005F84: D3F300B8 0EE3051A
	v_mfma_f32_16x16x32_fp8_fp8 v[188:191], a[24:25], v[132:133], 0// 000000005F8C: D3F300BC 0A030918
	v_mfma_f32_16x16x32_fp8_fp8 v[188:191], a[26:27], v[134:135], v[188:191]// 000000005F94: D3F300BC 0EF30D1A
	v_mfma_f32_16x16x32_fp8_fp8 v[192:195], a[28:29], v[128:129], 0// 000000005F9C: D3F300C0 0A03011C
	buffer_load_dwordx4 a[12:15], v36, s[12:15], 0 offen       // 000000005FA4: E05C1000 80830C24
	v_mfma_f32_16x16x32_fp8_fp8 v[192:195], a[30:31], v[130:131], v[192:195]// 000000005FAC: D3F300C0 0F03051E
	v_mfma_f32_16x16x32_fp8_fp8 v[196:199], a[28:29], v[132:133], 0// 000000005FB4: D3F300C4 0A03091C
	v_mfma_f32_16x16x32_fp8_fp8 v[196:199], a[30:31], v[134:135], v[196:199]// 000000005FBC: D3F300C4 0F130D1E
	s_add_u32 s60, 0x200, s80                                  // 000000005FC4: 803C50FF 00000200
	s_cmp_lt_u32 s60, s81                                      // 000000005FCC: BF0A513C
	s_cselect_b32 s56, s56, 0                                  // 000000005FD0: 85388038
	s_cselect_b32 s78, s78, 0                                  // 000000005FD4: 854E804E
	s_cselect_b32 s79, s79, 0                                  // 000000005FD8: 854F804F
	s_add_u32 s12, s56, s12                                    // 000000005FDC: 800C0C38
	s_addc_u32 s13, 0, s13                                     // 000000005FE0: 820D0D80
	s_add_u32 s16, s79, s16                                    // 000000005FE4: 8010104F
	s_addc_u32 s17, 0, s17                                     // 000000005FE8: 82111180
	v_mul_f32_e32 v168, v22, v168                              // 000000005FEC: 0B515116
	v_mul_f32_e32 v169, v22, v169                              // 000000005FF0: 0B535316
	v_mul_f32_e32 v170, v22, v170                              // 000000005FF4: 0B555516
	v_mul_f32_e32 v171, v22, v171                              // 000000005FF8: 0B575716
	v_mul_f32_dpp v168, v12, v168 row_newbcast:0 row_mask:0xf bank_mask:0xf// 000000005FFC: 0B5150FA FF01500C
	v_mul_f32_dpp v169, v12, v169 row_newbcast:1 row_mask:0xf bank_mask:0xf// 000000006004: 0B5352FA FF01510C
	v_mul_f32_dpp v170, v12, v170 row_newbcast:2 row_mask:0xf bank_mask:0xf// 00000000600C: 0B5554FA FF01520C
	v_mul_f32_dpp v171, v12, v171 row_newbcast:3 row_mask:0xf bank_mask:0xf// 000000006014: 0B5756FA FF01530C
	v_mul_f32_e32 v172, v23, v172                              // 00000000601C: 0B595917
	v_mul_f32_e32 v173, v23, v173                              // 000000006020: 0B5B5B17
	v_mul_f32_e32 v174, v23, v174                              // 000000006024: 0B5D5D17
	v_mul_f32_e32 v175, v23, v175                              // 000000006028: 0B5F5F17
	v_mul_f32_dpp v172, v12, v172 row_newbcast:0 row_mask:0xf bank_mask:0xf// 00000000602C: 0B5958FA FF01500C
	v_mul_f32_dpp v173, v12, v173 row_newbcast:1 row_mask:0xf bank_mask:0xf// 000000006034: 0B5B5AFA FF01510C
	v_mul_f32_dpp v174, v12, v174 row_newbcast:2 row_mask:0xf bank_mask:0xf// 00000000603C: 0B5D5CFA FF01520C
	v_mul_f32_dpp v175, v12, v175 row_newbcast:3 row_mask:0xf bank_mask:0xf// 000000006044: 0B5F5EFA FF01530C
	v_mul_f32_e32 v176, v22, v176                              // 00000000604C: 0B616116
	v_mul_f32_e32 v177, v22, v177                              // 000000006050: 0B636316
	v_mul_f32_e32 v178, v22, v178                              // 000000006054: 0B656516
	v_mul_f32_e32 v179, v22, v179                              // 000000006058: 0B676716
	v_mul_f32_dpp v176, v12, v176 row_newbcast:4 row_mask:0xf bank_mask:0xf// 00000000605C: 0B6160FA FF01540C
	v_mul_f32_dpp v177, v12, v177 row_newbcast:5 row_mask:0xf bank_mask:0xf// 000000006064: 0B6362FA FF01550C
	v_mul_f32_dpp v178, v12, v178 row_newbcast:6 row_mask:0xf bank_mask:0xf// 00000000606C: 0B6564FA FF01560C
	v_mul_f32_dpp v179, v12, v179 row_newbcast:7 row_mask:0xf bank_mask:0xf// 000000006074: 0B6766FA FF01570C
	v_mul_f32_e32 v180, v23, v180                              // 00000000607C: 0B696917
	v_mul_f32_e32 v181, v23, v181                              // 000000006080: 0B6B6B17
	v_mul_f32_e32 v182, v23, v182                              // 000000006084: 0B6D6D17
	v_mul_f32_e32 v183, v23, v183                              // 000000006088: 0B6F6F17
	v_mul_f32_dpp v180, v12, v180 row_newbcast:4 row_mask:0xf bank_mask:0xf// 00000000608C: 0B6968FA FF01540C
	v_mul_f32_dpp v181, v12, v181 row_newbcast:5 row_mask:0xf bank_mask:0xf// 000000006094: 0B6B6AFA FF01550C
	v_mul_f32_dpp v182, v12, v182 row_newbcast:6 row_mask:0xf bank_mask:0xf// 00000000609C: 0B6D6CFA FF01560C
	v_mul_f32_dpp v183, v12, v183 row_newbcast:7 row_mask:0xf bank_mask:0xf// 0000000060A4: 0B6F6EFA FF01570C
	v_mul_f32_e32 v184, v22, v184                              // 0000000060AC: 0B717116
	v_mul_f32_e32 v185, v22, v185                              // 0000000060B0: 0B737316
	v_mul_f32_e32 v186, v22, v186                              // 0000000060B4: 0B757516
	v_mul_f32_e32 v187, v22, v187                              // 0000000060B8: 0B777716
	v_mul_f32_dpp v184, v12, v184 row_newbcast:8 row_mask:0xf bank_mask:0xf// 0000000060BC: 0B7170FA FF01580C
	v_mul_f32_dpp v185, v12, v185 row_newbcast:9 row_mask:0xf bank_mask:0xf// 0000000060C4: 0B7372FA FF01590C
	v_mul_f32_dpp v186, v12, v186 row_newbcast:10 row_mask:0xf bank_mask:0xf// 0000000060CC: 0B7574FA FF015A0C
	v_mul_f32_dpp v187, v12, v187 row_newbcast:11 row_mask:0xf bank_mask:0xf// 0000000060D4: 0B7776FA FF015B0C
	v_mul_f32_e32 v188, v23, v188                              // 0000000060DC: 0B797917
	v_mul_f32_e32 v189, v23, v189                              // 0000000060E0: 0B7B7B17
	v_mul_f32_e32 v190, v23, v190                              // 0000000060E4: 0B7D7D17
	v_mul_f32_e32 v191, v23, v191                              // 0000000060E8: 0B7F7F17
	v_mul_f32_dpp v188, v12, v188 row_newbcast:8 row_mask:0xf bank_mask:0xf// 0000000060EC: 0B7978FA FF01580C
	v_mul_f32_dpp v189, v12, v189 row_newbcast:9 row_mask:0xf bank_mask:0xf// 0000000060F4: 0B7B7AFA FF01590C
	v_mul_f32_dpp v190, v12, v190 row_newbcast:10 row_mask:0xf bank_mask:0xf// 0000000060FC: 0B7D7CFA FF015A0C
	v_mul_f32_dpp v191, v12, v191 row_newbcast:11 row_mask:0xf bank_mask:0xf// 000000006104: 0B7F7EFA FF015B0C
	v_mul_f32_e32 v192, v22, v192                              // 00000000610C: 0B818116
	v_mul_f32_e32 v193, v22, v193                              // 000000006110: 0B838316
	v_mul_f32_e32 v194, v22, v194                              // 000000006114: 0B858516
	v_mul_f32_e32 v195, v22, v195                              // 000000006118: 0B878716
	v_mul_f32_dpp v192, v12, v192 row_newbcast:12 row_mask:0xf bank_mask:0xf// 00000000611C: 0B8180FA FF015C0C
	v_mul_f32_dpp v193, v12, v193 row_newbcast:13 row_mask:0xf bank_mask:0xf// 000000006124: 0B8382FA FF015D0C
	v_mul_f32_dpp v194, v12, v194 row_newbcast:14 row_mask:0xf bank_mask:0xf// 00000000612C: 0B8584FA FF015E0C
	v_mul_f32_dpp v195, v12, v195 row_newbcast:15 row_mask:0xf bank_mask:0xf// 000000006134: 0B8786FA FF015F0C
	v_mul_f32_e32 v196, v23, v196                              // 00000000613C: 0B898917
	v_mul_f32_e32 v197, v23, v197                              // 000000006140: 0B8B8B17
	v_mul_f32_e32 v198, v23, v198                              // 000000006144: 0B8D8D17
	v_mul_f32_e32 v199, v23, v199                              // 000000006148: 0B8F8F17
	v_mul_f32_dpp v196, v12, v196 row_newbcast:12 row_mask:0xf bank_mask:0xf// 00000000614C: 0B8988FA FF015C0C
	v_mul_f32_dpp v197, v12, v197 row_newbcast:13 row_mask:0xf bank_mask:0xf// 000000006154: 0B8B8AFA FF015D0C
	v_mul_f32_dpp v198, v12, v198 row_newbcast:14 row_mask:0xf bank_mask:0xf// 00000000615C: 0B8D8CFA FF015E0C
	v_mul_f32_dpp v199, v12, v199 row_newbcast:15 row_mask:0xf bank_mask:0xf// 000000006164: 0B8F8EFA FF015F0C
	v_cmp_u_f32_e64 s[48:49], v168, v168                       // 00000000616C: D0480030 000351A8
	v_add3_u32 v37, v168, v40, 1                               // 000000006174: D1FF0025 020651A8
	v_cndmask_b32_e64 v42, v37, v39, s[48:49]                  // 00000000617C: D100002A 00C24F25
	v_cmp_u_f32_e64 s[48:49], v169, v169                       // 000000006184: D0480030 000353A9
	v_add3_u32 v37, v169, v40, 1                               // 00000000618C: D1FF0025 020651A9
	v_cndmask_b32_e64 v43, v37, v39, s[48:49]                  // 000000006194: D100002B 00C24F25
	v_perm_b32 v168, v43, v42, s52                             // 00000000619C: D1ED00A8 00D2552B
	v_cmp_u_f32_e64 s[48:49], v170, v170                       // 0000000061A4: D0480030 000355AA
	v_add3_u32 v37, v170, v40, 1                               // 0000000061AC: D1FF0025 020651AA
	v_cndmask_b32_e64 v42, v37, v39, s[48:49]                  // 0000000061B4: D100002A 00C24F25
	v_cmp_u_f32_e64 s[48:49], v171, v171                       // 0000000061BC: D0480030 000357AB
	v_add3_u32 v37, v171, v40, 1                               // 0000000061C4: D1FF0025 020651AB
	v_cndmask_b32_e64 v43, v37, v39, s[48:49]                  // 0000000061CC: D100002B 00C24F25
	v_perm_b32 v169, v43, v42, s52                             // 0000000061D4: D1ED00A9 00D2552B
	v_cmp_u_f32_e64 s[48:49], v172, v172                       // 0000000061DC: D0480030 000359AC
	v_add3_u32 v37, v172, v40, 1                               // 0000000061E4: D1FF0025 020651AC
	v_cndmask_b32_e64 v42, v37, v39, s[48:49]                  // 0000000061EC: D100002A 00C24F25
	v_cmp_u_f32_e64 s[48:49], v173, v173                       // 0000000061F4: D0480030 00035BAD
	v_add3_u32 v37, v173, v40, 1                               // 0000000061FC: D1FF0025 020651AD
	v_cndmask_b32_e64 v43, v37, v39, s[48:49]                  // 000000006204: D100002B 00C24F25
	v_perm_b32 v170, v43, v42, s52                             // 00000000620C: D1ED00AA 00D2552B
	v_cmp_u_f32_e64 s[48:49], v174, v174                       // 000000006214: D0480030 00035DAE
	v_add3_u32 v37, v174, v40, 1                               // 00000000621C: D1FF0025 020651AE
	v_cndmask_b32_e64 v42, v37, v39, s[48:49]                  // 000000006224: D100002A 00C24F25
	v_cmp_u_f32_e64 s[48:49], v175, v175                       // 00000000622C: D0480030 00035FAF
	v_add3_u32 v37, v175, v40, 1                               // 000000006234: D1FF0025 020651AF
	v_cndmask_b32_e64 v43, v37, v39, s[48:49]                  // 00000000623C: D100002B 00C24F25
	v_perm_b32 v171, v43, v42, s52                             // 000000006244: D1ED00AB 00D2552B
	v_cmp_u_f32_e64 s[48:49], v176, v176                       // 00000000624C: D0480030 000361B0
	v_add3_u32 v37, v176, v40, 1                               // 000000006254: D1FF0025 020651B0
	v_cndmask_b32_e64 v42, v37, v39, s[48:49]                  // 00000000625C: D100002A 00C24F25
	v_cmp_u_f32_e64 s[48:49], v177, v177                       // 000000006264: D0480030 000363B1
	v_add3_u32 v37, v177, v40, 1                               // 00000000626C: D1FF0025 020651B1
	v_cndmask_b32_e64 v43, v37, v39, s[48:49]                  // 000000006274: D100002B 00C24F25
	v_perm_b32 v172, v43, v42, s52                             // 00000000627C: D1ED00AC 00D2552B
	v_cmp_u_f32_e64 s[48:49], v178, v178                       // 000000006284: D0480030 000365B2
	v_add3_u32 v37, v178, v40, 1                               // 00000000628C: D1FF0025 020651B2
	v_cndmask_b32_e64 v42, v37, v39, s[48:49]                  // 000000006294: D100002A 00C24F25
	v_cmp_u_f32_e64 s[48:49], v179, v179                       // 00000000629C: D0480030 000367B3
	v_add3_u32 v37, v179, v40, 1                               // 0000000062A4: D1FF0025 020651B3
	v_cndmask_b32_e64 v43, v37, v39, s[48:49]                  // 0000000062AC: D100002B 00C24F25
	v_perm_b32 v173, v43, v42, s52                             // 0000000062B4: D1ED00AD 00D2552B
	v_cmp_u_f32_e64 s[48:49], v180, v180                       // 0000000062BC: D0480030 000369B4
	v_add3_u32 v37, v180, v40, 1                               // 0000000062C4: D1FF0025 020651B4
	v_cndmask_b32_e64 v42, v37, v39, s[48:49]                  // 0000000062CC: D100002A 00C24F25
	v_cmp_u_f32_e64 s[48:49], v181, v181                       // 0000000062D4: D0480030 00036BB5
	v_add3_u32 v37, v181, v40, 1                               // 0000000062DC: D1FF0025 020651B5
	v_cndmask_b32_e64 v43, v37, v39, s[48:49]                  // 0000000062E4: D100002B 00C24F25
	v_perm_b32 v174, v43, v42, s52                             // 0000000062EC: D1ED00AE 00D2552B
	v_cmp_u_f32_e64 s[48:49], v182, v182                       // 0000000062F4: D0480030 00036DB6
	v_add3_u32 v37, v182, v40, 1                               // 0000000062FC: D1FF0025 020651B6
	v_cndmask_b32_e64 v42, v37, v39, s[48:49]                  // 000000006304: D100002A 00C24F25
	v_cmp_u_f32_e64 s[48:49], v183, v183                       // 00000000630C: D0480030 00036FB7
	v_add3_u32 v37, v183, v40, 1                               // 000000006314: D1FF0025 020651B7
	v_cndmask_b32_e64 v43, v37, v39, s[48:49]                  // 00000000631C: D100002B 00C24F25
	v_perm_b32 v175, v43, v42, s52                             // 000000006324: D1ED00AF 00D2552B
	v_cmp_u_f32_e64 s[48:49], v184, v184                       // 00000000632C: D0480030 000371B8
	v_add3_u32 v37, v184, v40, 1                               // 000000006334: D1FF0025 020651B8
	v_cndmask_b32_e64 v42, v37, v39, s[48:49]                  // 00000000633C: D100002A 00C24F25
	v_cmp_u_f32_e64 s[48:49], v185, v185                       // 000000006344: D0480030 000373B9
	v_add3_u32 v37, v185, v40, 1                               // 00000000634C: D1FF0025 020651B9
	v_cndmask_b32_e64 v43, v37, v39, s[48:49]                  // 000000006354: D100002B 00C24F25
	v_perm_b32 v176, v43, v42, s52                             // 00000000635C: D1ED00B0 00D2552B
	v_cmp_u_f32_e64 s[48:49], v186, v186                       // 000000006364: D0480030 000375BA
	v_add3_u32 v37, v186, v40, 1                               // 00000000636C: D1FF0025 020651BA
	v_cndmask_b32_e64 v42, v37, v39, s[48:49]                  // 000000006374: D100002A 00C24F25
	v_cmp_u_f32_e64 s[48:49], v187, v187                       // 00000000637C: D0480030 000377BB
	v_add3_u32 v37, v187, v40, 1                               // 000000006384: D1FF0025 020651BB
	v_cndmask_b32_e64 v43, v37, v39, s[48:49]                  // 00000000638C: D100002B 00C24F25
	v_perm_b32 v177, v43, v42, s52                             // 000000006394: D1ED00B1 00D2552B
	v_cmp_u_f32_e64 s[48:49], v188, v188                       // 00000000639C: D0480030 000379BC
	v_add3_u32 v37, v188, v40, 1                               // 0000000063A4: D1FF0025 020651BC
	v_cndmask_b32_e64 v42, v37, v39, s[48:49]                  // 0000000063AC: D100002A 00C24F25
	v_cmp_u_f32_e64 s[48:49], v189, v189                       // 0000000063B4: D0480030 00037BBD
	v_add3_u32 v37, v189, v40, 1                               // 0000000063BC: D1FF0025 020651BD
	v_cndmask_b32_e64 v43, v37, v39, s[48:49]                  // 0000000063C4: D100002B 00C24F25
	v_perm_b32 v178, v43, v42, s52                             // 0000000063CC: D1ED00B2 00D2552B
	v_cmp_u_f32_e64 s[48:49], v190, v190                       // 0000000063D4: D0480030 00037DBE
	v_add3_u32 v37, v190, v40, 1                               // 0000000063DC: D1FF0025 020651BE
	v_cndmask_b32_e64 v42, v37, v39, s[48:49]                  // 0000000063E4: D100002A 00C24F25
	v_cmp_u_f32_e64 s[48:49], v191, v191                       // 0000000063EC: D0480030 00037FBF
	v_add3_u32 v37, v191, v40, 1                               // 0000000063F4: D1FF0025 020651BF
	v_cndmask_b32_e64 v43, v37, v39, s[48:49]                  // 0000000063FC: D100002B 00C24F25
	v_perm_b32 v179, v43, v42, s52                             // 000000006404: D1ED00B3 00D2552B
	v_cmp_u_f32_e64 s[48:49], v192, v192                       // 00000000640C: D0480030 000381C0
	v_add3_u32 v37, v192, v40, 1                               // 000000006414: D1FF0025 020651C0
	v_cndmask_b32_e64 v42, v37, v39, s[48:49]                  // 00000000641C: D100002A 00C24F25
	v_cmp_u_f32_e64 s[48:49], v193, v193                       // 000000006424: D0480030 000383C1
	v_add3_u32 v37, v193, v40, 1                               // 00000000642C: D1FF0025 020651C1
	v_cndmask_b32_e64 v43, v37, v39, s[48:49]                  // 000000006434: D100002B 00C24F25
	v_perm_b32 v180, v43, v42, s52                             // 00000000643C: D1ED00B4 00D2552B
	v_cmp_u_f32_e64 s[48:49], v194, v194                       // 000000006444: D0480030 000385C2
	v_add3_u32 v37, v194, v40, 1                               // 00000000644C: D1FF0025 020651C2
	v_cndmask_b32_e64 v42, v37, v39, s[48:49]                  // 000000006454: D100002A 00C24F25
	v_cmp_u_f32_e64 s[48:49], v195, v195                       // 00000000645C: D0480030 000387C3
	v_add3_u32 v37, v195, v40, 1                               // 000000006464: D1FF0025 020651C3
	v_cndmask_b32_e64 v43, v37, v39, s[48:49]                  // 00000000646C: D100002B 00C24F25
	v_perm_b32 v181, v43, v42, s52                             // 000000006474: D1ED00B5 00D2552B
	v_cmp_u_f32_e64 s[48:49], v196, v196                       // 00000000647C: D0480030 000389C4
	v_add3_u32 v37, v196, v40, 1                               // 000000006484: D1FF0025 020651C4
	v_cndmask_b32_e64 v42, v37, v39, s[48:49]                  // 00000000648C: D100002A 00C24F25
	v_cmp_u_f32_e64 s[48:49], v197, v197                       // 000000006494: D0480030 00038BC5
	v_add3_u32 v37, v197, v40, 1                               // 00000000649C: D1FF0025 020651C5
	v_cndmask_b32_e64 v43, v37, v39, s[48:49]                  // 0000000064A4: D100002B 00C24F25
	v_perm_b32 v182, v43, v42, s52                             // 0000000064AC: D1ED00B6 00D2552B
	v_cmp_u_f32_e64 s[48:49], v198, v198                       // 0000000064B4: D0480030 00038DC6
	v_add3_u32 v37, v198, v40, 1                               // 0000000064BC: D1FF0025 020651C6
	v_cndmask_b32_e64 v42, v37, v39, s[48:49]                  // 0000000064C4: D100002A 00C24F25
	v_cmp_u_f32_e64 s[48:49], v199, v199                       // 0000000064CC: D0480030 00038FC7
	v_add3_u32 v37, v199, v40, 1                               // 0000000064D4: D1FF0025 020651C7
	v_cndmask_b32_e64 v43, v37, v39, s[48:49]                  // 0000000064DC: D100002B 00C24F25
	v_perm_b32 v183, v43, v42, s52                             // 0000000064E4: D1ED00B7 00D2552B
	ds_write_b64 v3, v[168:169] offset:20736                   // 0000000064EC: D89A5100 0000A803
	ds_write_b64 v3, v[170:171] offset:29440                   // 0000000064F4: D89A7300 0000AA03
	ds_write_b64 v3, v[172:173] offset:22912                   // 0000000064FC: D89A5980 0000AC03
	ds_write_b64 v3, v[174:175] offset:31616                   // 000000006504: D89A7B80 0000AE03
	ds_write_b64 v3, v[176:177] offset:25088                   // 00000000650C: D89A6200 0000B003
	ds_write_b64 v3, v[178:179] offset:33792                   // 000000006514: D89A8400 0000B203
	ds_write_b64 v3, v[180:181] offset:27264                   // 00000000651C: D89A6A80 0000B403
	ds_write_b64 v3, v[182:183] offset:35968                   // 000000006524: D89A8C80 0000B603
	s_waitcnt lgkmcnt(0)                                       // 00000000652C: BF8CC07F
	s_barrier                                                  // 000000006530: BF8A0000
	ds_read_b32 v64, v4 offset:20736                           // 000000006534: D86C5100 40000004
	ds_read_b32 v65, v4 offset:25088                           // 00000000653C: D86C6200 41000004
	ds_read_b32 v66, v4 offset:20768                           // 000000006544: D86C5120 42000004
	ds_read_b32 v67, v4 offset:25120                           // 00000000654C: D86C6220 43000004
	ds_read_b32 v68, v4 offset:20800                           // 000000006554: D86C5140 44000004
	ds_read_b32 v69, v4 offset:25152                           // 00000000655C: D86C6240 45000004
	ds_read_b32 v70, v4 offset:20832                           // 000000006564: D86C5160 46000004
	ds_read_b32 v71, v4 offset:25184                           // 00000000656C: D86C6260 47000004
	ds_read_b32 v72, v4 offset:29440                           // 000000006574: D86C7300 48000004
	ds_read_b32 v73, v4 offset:33792                           // 00000000657C: D86C8400 49000004
	ds_read_b32 v74, v4 offset:29472                           // 000000006584: D86C7320 4A000004
	ds_read_b32 v75, v4 offset:33824                           // 00000000658C: D86C8420 4B000004
	ds_read_b32 v76, v4 offset:29504                           // 000000006594: D86C7340 4C000004
	ds_read_b32 v77, v4 offset:33856                           // 00000000659C: D86C8440 4D000004
	ds_read_b32 v78, v4 offset:29536                           // 0000000065A4: D86C7360 4E000004
	ds_read_b32 v79, v4 offset:33888                           // 0000000065AC: D86C8460 4F000004
	s_waitcnt lgkmcnt(0)                                       // 0000000065B4: BF8CC07F
	s_mov_b64 exec, s[20:21]                                   // 0000000065B8: BEFE0114
	global_atomic_pk_add_bf16 v80, v64, s[8:9]                 // 0000000065BC: DD488000 00084050
	s_mov_b64 exec, s[36:37]                                   // 0000000065C4: BEFE0124
	s_mov_b64 exec, s[20:21]                                   // 0000000065C8: BEFE0114
	global_atomic_pk_add_bf16 v80, v65, s[8:9] offset:256      // 0000000065CC: DD488100 00084150
	s_mov_b64 exec, s[36:37]                                   // 0000000065D4: BEFE0124
	s_mov_b64 exec, s[22:23]                                   // 0000000065D8: BEFE0116
	global_atomic_pk_add_bf16 v82, v66, s[8:9]                 // 0000000065DC: DD488000 00084252
	s_mov_b64 exec, s[36:37]                                   // 0000000065E4: BEFE0124
	s_mov_b64 exec, s[22:23]                                   // 0000000065E8: BEFE0116
	global_atomic_pk_add_bf16 v82, v67, s[8:9] offset:256      // 0000000065EC: DD488100 00084352
	s_mov_b64 exec, s[36:37]                                   // 0000000065F4: BEFE0124
	s_mov_b64 exec, s[24:25]                                   // 0000000065F8: BEFE0118
	global_atomic_pk_add_bf16 v84, v68, s[8:9]                 // 0000000065FC: DD488000 00084454
	s_mov_b64 exec, s[36:37]                                   // 000000006604: BEFE0124
	s_mov_b64 exec, s[24:25]                                   // 000000006608: BEFE0118
	global_atomic_pk_add_bf16 v84, v69, s[8:9] offset:256      // 00000000660C: DD488100 00084554
	s_mov_b64 exec, s[36:37]                                   // 000000006614: BEFE0124
	s_mov_b64 exec, s[26:27]                                   // 000000006618: BEFE011A
	global_atomic_pk_add_bf16 v86, v70, s[8:9]                 // 00000000661C: DD488000 00084656
	s_mov_b64 exec, s[36:37]                                   // 000000006624: BEFE0124
	s_mov_b64 exec, s[26:27]                                   // 000000006628: BEFE011A
	global_atomic_pk_add_bf16 v86, v71, s[8:9] offset:256      // 00000000662C: DD488100 00084756
	s_mov_b64 exec, s[36:37]                                   // 000000006634: BEFE0124
	s_mov_b64 exec, s[28:29]                                   // 000000006638: BEFE011C
	global_atomic_pk_add_bf16 v88, v72, s[8:9]                 // 00000000663C: DD488000 00084858
	s_mov_b64 exec, s[36:37]                                   // 000000006644: BEFE0124
	s_mov_b64 exec, s[28:29]                                   // 000000006648: BEFE011C
	global_atomic_pk_add_bf16 v88, v73, s[8:9] offset:256      // 00000000664C: DD488100 00084958
	s_mov_b64 exec, s[36:37]                                   // 000000006654: BEFE0124
	s_mov_b64 exec, s[30:31]                                   // 000000006658: BEFE011E
	global_atomic_pk_add_bf16 v90, v74, s[8:9]                 // 00000000665C: DD488000 00084A5A
	s_mov_b64 exec, s[36:37]                                   // 000000006664: BEFE0124
	s_mov_b64 exec, s[30:31]                                   // 000000006668: BEFE011E
	global_atomic_pk_add_bf16 v90, v75, s[8:9] offset:256      // 00000000666C: DD488100 00084B5A
	s_mov_b64 exec, s[36:37]                                   // 000000006674: BEFE0124
	s_mov_b64 exec, s[32:33]                                   // 000000006678: BEFE0120
	global_atomic_pk_add_bf16 v92, v76, s[8:9]                 // 00000000667C: DD488000 00084C5C
	s_mov_b64 exec, s[36:37]                                   // 000000006684: BEFE0124
	s_mov_b64 exec, s[32:33]                                   // 000000006688: BEFE0120
	global_atomic_pk_add_bf16 v92, v77, s[8:9] offset:256      // 00000000668C: DD488100 00084D5C
	s_mov_b64 exec, s[36:37]                                   // 000000006694: BEFE0124
	s_mov_b64 exec, s[34:35]                                   // 000000006698: BEFE0122
	global_atomic_pk_add_bf16 v94, v78, s[8:9]                 // 00000000669C: DD488000 00084E5E
	s_mov_b64 exec, s[36:37]                                   // 0000000066A4: BEFE0124
	s_mov_b64 exec, s[34:35]                                   // 0000000066A8: BEFE0122
	global_atomic_pk_add_bf16 v94, v79, s[8:9] offset:256      // 0000000066AC: DD488100 00084F5E
	s_mov_b64 exec, s[36:37]                                   // 0000000066B4: BEFE0124
	s_add_u32 s8, s59, s8                                      // 0000000066B8: 8008083B
	s_addc_u32 s9, 0, s9                                       // 0000000066BC: 82090980
	s_addk_i32 s80, 0x100                                      // 0000000066C0: B7500100
	s_cmp_lt_i32 s80, s81                                      // 0000000066C4: BF045150
	s_cbranch_scc0 label_0874                                  // 0000000066C8: BF84F981
	s_branch label_0B15                                        // 0000000066CC: BF82FC21

00000000000066d0 <label_0EF4>:
	s_waitcnt vmcnt(0) expcnt(0) lgkmcnt(0)                    // 0000000066D0: BF8C0000
	s_endpgm                                                   // 0000000066D4: BF810000
